;; amdgpu-corpus repo=ROCm/aiter kind=compiled arch=gfx90a opt=O3
	.text
	.amdgcn_target "amdgcn-amd-amdhsa--gfx90a"
	.amdhsa_code_object_version 6
	.section	.text._ZN7ck_tileL11flush_cacheEv,"axG",@progbits,_ZN7ck_tileL11flush_cacheEv,comdat
	.globl	_ZN7ck_tileL11flush_cacheEv     ; -- Begin function _ZN7ck_tileL11flush_cacheEv
	.p2align	8
	.type	_ZN7ck_tileL11flush_cacheEv,@function
_ZN7ck_tileL11flush_cacheEv:            ; @_ZN7ck_tileL11flush_cacheEv
; %bb.0:
	;;#ASMSTART
	s_icache_inv 
	s_nop 0 
	s_nop 0 
	;; [unrolled: 1-line block ×16, first 2 shown]
	
	;;#ASMEND
	s_endpgm
	.section	.rodata,"a",@progbits
	.p2align	6, 0x0
	.amdhsa_kernel _ZN7ck_tileL11flush_cacheEv
		.amdhsa_group_segment_fixed_size 0
		.amdhsa_private_segment_fixed_size 0
		.amdhsa_kernarg_size 0
		.amdhsa_user_sgpr_count 4
		.amdhsa_user_sgpr_private_segment_buffer 1
		.amdhsa_user_sgpr_dispatch_ptr 0
		.amdhsa_user_sgpr_queue_ptr 0
		.amdhsa_user_sgpr_kernarg_segment_ptr 0
		.amdhsa_user_sgpr_dispatch_id 0
		.amdhsa_user_sgpr_flat_scratch_init 0
		.amdhsa_user_sgpr_kernarg_preload_length 0
		.amdhsa_user_sgpr_kernarg_preload_offset 0
		.amdhsa_user_sgpr_private_segment_size 0
		.amdhsa_uses_dynamic_stack 0
		.amdhsa_system_sgpr_private_segment_wavefront_offset 0
		.amdhsa_system_sgpr_workgroup_id_x 1
		.amdhsa_system_sgpr_workgroup_id_y 0
		.amdhsa_system_sgpr_workgroup_id_z 0
		.amdhsa_system_sgpr_workgroup_info 0
		.amdhsa_system_vgpr_workitem_id 0
		.amdhsa_next_free_vgpr 1
		.amdhsa_next_free_sgpr 0
		.amdhsa_accum_offset 4
		.amdhsa_reserve_vcc 0
		.amdhsa_reserve_flat_scratch 0
		.amdhsa_float_round_mode_32 0
		.amdhsa_float_round_mode_16_64 0
		.amdhsa_float_denorm_mode_32 3
		.amdhsa_float_denorm_mode_16_64 3
		.amdhsa_dx10_clamp 1
		.amdhsa_ieee_mode 1
		.amdhsa_fp16_overflow 0
		.amdhsa_tg_split 0
		.amdhsa_exception_fp_ieee_invalid_op 0
		.amdhsa_exception_fp_denorm_src 0
		.amdhsa_exception_fp_ieee_div_zero 0
		.amdhsa_exception_fp_ieee_overflow 0
		.amdhsa_exception_fp_ieee_underflow 0
		.amdhsa_exception_fp_ieee_inexact 0
		.amdhsa_exception_int_div_zero 0
	.end_amdhsa_kernel
	.section	.text._ZN7ck_tileL11flush_cacheEv,"axG",@progbits,_ZN7ck_tileL11flush_cacheEv,comdat
.Lfunc_end0:
	.size	_ZN7ck_tileL11flush_cacheEv, .Lfunc_end0-_ZN7ck_tileL11flush_cacheEv
                                        ; -- End function
	.section	.AMDGPU.csdata,"",@progbits
; Kernel info:
; codeLenInByte = 140
; NumSgprs: 4
; NumVgprs: 0
; NumAgprs: 0
; TotalNumVgprs: 0
; ScratchSize: 0
; MemoryBound: 0
; FloatMode: 240
; IeeeMode: 1
; LDSByteSize: 0 bytes/workgroup (compile time only)
; SGPRBlocks: 0
; VGPRBlocks: 0
; NumSGPRsForWavesPerEU: 4
; NumVGPRsForWavesPerEU: 1
; AccumOffset: 4
; Occupancy: 8
; WaveLimiterHint : 0
; COMPUTE_PGM_RSRC2:SCRATCH_EN: 0
; COMPUTE_PGM_RSRC2:USER_SGPR: 4
; COMPUTE_PGM_RSRC2:TRAP_HANDLER: 0
; COMPUTE_PGM_RSRC2:TGID_X_EN: 1
; COMPUTE_PGM_RSRC2:TGID_Y_EN: 0
; COMPUTE_PGM_RSRC2:TGID_Z_EN: 0
; COMPUTE_PGM_RSRC2:TIDIG_COMP_CNT: 0
; COMPUTE_PGM_RSRC3_GFX90A:ACCUM_OFFSET: 0
; COMPUTE_PGM_RSRC3_GFX90A:TG_SPLIT: 0
	.section	.text._ZN5aiter2mb23radix_kernel_persistentIfiLi11ELi1024ELb1ELb0ELNS0_5PhaseE0EEEvPKT_PKT0_PS3_PS6_PNS0_7CounterIS3_S6_EESA_S6_S8_S8_S6_S6_b,"axG",@progbits,_ZN5aiter2mb23radix_kernel_persistentIfiLi11ELi1024ELb1ELb0ELNS0_5PhaseE0EEEvPKT_PKT0_PS3_PS6_PNS0_7CounterIS3_S6_EESA_S6_S8_S8_S6_S6_b,comdat
	.protected	_ZN5aiter2mb23radix_kernel_persistentIfiLi11ELi1024ELb1ELb0ELNS0_5PhaseE0EEEvPKT_PKT0_PS3_PS6_PNS0_7CounterIS3_S6_EESA_S6_S8_S8_S6_S6_b ; -- Begin function _ZN5aiter2mb23radix_kernel_persistentIfiLi11ELi1024ELb1ELb0ELNS0_5PhaseE0EEEvPKT_PKT0_PS3_PS6_PNS0_7CounterIS3_S6_EESA_S6_S8_S8_S6_S6_b
	.globl	_ZN5aiter2mb23radix_kernel_persistentIfiLi11ELi1024ELb1ELb0ELNS0_5PhaseE0EEEvPKT_PKT0_PS3_PS6_PNS0_7CounterIS3_S6_EESA_S6_S8_S8_S6_S6_b
	.p2align	8
	.type	_ZN5aiter2mb23radix_kernel_persistentIfiLi11ELi1024ELb1ELb0ELNS0_5PhaseE0EEEvPKT_PKT0_PS3_PS6_PNS0_7CounterIS3_S6_EESA_S6_S8_S8_S6_S6_b,@function
_ZN5aiter2mb23radix_kernel_persistentIfiLi11ELi1024ELb1ELb0ELNS0_5PhaseE0EEEvPKT_PKT0_PS3_PS6_PNS0_7CounterIS3_S6_EESA_S6_S8_S8_S6_S6_b: ; @_ZN5aiter2mb23radix_kernel_persistentIfiLi11ELi1024ELb1ELb0ELNS0_5PhaseE0EEEvPKT_PKT0_PS3_PS6_PNS0_7CounterIS3_S6_EESA_S6_S8_S8_S6_S6_b
; %bb.0:
	s_load_dwordx4 s[0:3], s[4:5], 0x38
	s_load_dword s10, s[4:5], 0x30
	s_mov_b32 s24, s7
	s_mov_b32 s25, 0
	s_waitcnt lgkmcnt(0)
	s_cmp_lg_u64 s[0:1], 0
	s_cselect_b64 s[8:9], -1, 0
	s_cmp_eq_u64 s[0:1], 0
	s_cselect_b64 s[12:13], -1, 0
	s_cmp_eq_u64 s[2:3], 0
	s_cselect_b64 s[14:15], -1, 0
	s_or_b64 s[12:13], s[12:13], s[14:15]
	s_and_b64 vcc, exec, s[12:13]
	s_mov_b32 s7, s10
	s_cbranch_vccnz .LBB1_2
; %bb.1:
	s_lshl_b64 s[12:13], s[24:25], 2
	s_add_u32 s14, s0, s12
	s_addc_u32 s15, s1, s13
	s_add_u32 s2, s2, s12
	s_addc_u32 s3, s3, s13
	s_load_dword s7, s[2:3], 0x0
	s_load_dword s11, s[14:15], 0x0
	s_waitcnt lgkmcnt(0)
	s_sub_i32 s7, s7, s11
.LBB1_2:
	s_andn2_b64 vcc, exec, s[8:9]
	s_cbranch_vccnz .LBB1_4
; %bb.3:
	s_lshl_b64 s[2:3], s[24:25], 2
	s_add_u32 s0, s0, s2
	s_addc_u32 s1, s1, s3
	s_load_dword s25, s[0:1], 0x0
.LBB1_4:
	s_load_dword s73, s[4:5], 0x48
	s_load_dword s2, s[4:5], 0x64
	s_add_u32 s40, s4, 0x58
	v_and_b32_e32 v26, 0x3ff, v0
	s_addc_u32 s41, s5, 0
	v_cmp_ne_u32_e64 s[20:21], 0, v26
	v_cmp_eq_u32_e64 s[22:23], 0, v26
	s_and_saveexec_b64 s[0:1], s[22:23]
	s_cbranch_execz .LBB1_6
; %bb.5:
	v_mov_b32_e32 v2, 0
	s_waitcnt lgkmcnt(0)
	v_mov_b32_e32 v3, s73
	v_mov_b32_e32 v4, s7
	ds_write_b96 v2, v[2:4] offset:16896
.LBB1_6:
	s_or_b64 exec, exec, s[0:1]
	s_load_dword s79, s[4:5], 0x58
	s_load_dwordx8 s[44:51], s[4:5], 0x0
	s_ashr_i32 s0, s10, 31
	s_mul_hi_u32 s1, s10, s24
	s_mul_i32 s0, s0, s24
	s_add_i32 s1, s1, s0
	s_mul_i32 s0, s10, s24
	s_lshl_b64 s[0:1], s[0:1], 2
	s_waitcnt lgkmcnt(0)
	s_add_u32 s3, s44, s0
	s_addc_u32 s10, s45, s1
	s_ashr_i32 s9, s25, 31
	s_mov_b32 s8, s25
	s_lshl_b64 s[8:9], s[8:9], 2
	s_add_u32 s16, s3, s8
	s_addc_u32 s17, s10, s9
	s_add_u32 s0, s46, s0
	s_addc_u32 s1, s47, s1
	s_add_u32 s0, s0, s8
	s_addc_u32 s1, s1, s9
	s_cmp_lg_u64 s[46:47], 0
	s_cselect_b32 s27, s1, 0
	s_cselect_b32 s26, s0, 0
	s_ashr_i32 s0, s73, 31
	s_mul_hi_u32 s1, s73, s24
	s_mul_i32 s0, s0, s24
	s_add_i32 s1, s1, s0
	s_mul_i32 s0, s73, s24
	s_lshl_b64 s[0:1], s[0:1], 2
	s_add_u32 s63, s48, s0
	s_addc_u32 s64, s49, s1
	s_add_u32 s33, s50, s0
	s_addc_u32 s62, s51, s1
	s_and_b32 s74, 0xffff, s2
	s_cmp_le_i32 s7, s73
	s_mov_b64 s[0:1], -1
	s_barrier
	s_cbranch_scc0 .LBB1_18
; %bb.7:
	s_cmp_eq_u32 s6, 0
	s_cselect_b64 s[0:1], -1, 0
	v_cmp_gt_i32_e32 vcc, s73, v26
	s_and_b64 s[0:1], s[0:1], vcc
	s_and_saveexec_b64 s[8:9], s[0:1]
	s_cbranch_execz .LBB1_17
; %bb.8:
	s_cmp_lg_u64 s[26:27], 0
	s_cselect_b64 s[0:1], -1, 0
	v_cndmask_b32_e64 v1, 0, 1, s[0:1]
	s_mov_b64 s[10:11], 0
	v_cmp_ne_u32_e64 s[0:1], 1, v1
	v_mov_b32_e32 v1, s62
	v_mov_b32_e32 v6, s64
	;; [unrolled: 1-line block ×3, first 2 shown]
	s_branch .LBB1_10
.LBB1_9:                                ;   in Loop: Header=BB1_10 Depth=1
	s_or_b64 exec, exec, s[12:13]
	v_add_co_u32_e32 v4, vcc, s63, v4
	v_addc_co_u32_e32 v5, vcc, v6, v5, vcc
	v_add_u32_e32 v2, s74, v2
	v_cmp_le_i32_e32 vcc, s73, v2
	s_or_b64 s[10:11], vcc, s[10:11]
	s_waitcnt vmcnt(0)
	global_store_dword v[4:5], v3, off
	s_andn2_b64 exec, exec, s[10:11]
	s_cbranch_execz .LBB1_17
.LBB1_10:                               ; =>This Inner Loop Header: Depth=1
	v_cmp_gt_i32_e64 s[2:3], s7, v2
	v_mov_b32_e32 v7, -1
	s_and_saveexec_b64 s[12:13], s[2:3]
	s_cbranch_execz .LBB1_14
; %bb.11:                               ;   in Loop: Header=BB1_10 Depth=1
	s_and_b64 vcc, exec, s[0:1]
	s_cbranch_vccnz .LBB1_16
; %bb.12:                               ;   in Loop: Header=BB1_10 Depth=1
	v_ashrrev_i32_e32 v3, 31, v2
	v_lshlrev_b64 v[4:5], 2, v[2:3]
	v_mov_b32_e32 v3, s27
	v_add_co_u32_e32 v4, vcc, s26, v4
	v_addc_co_u32_e32 v5, vcc, v3, v5, vcc
	global_load_dword v7, v[4:5], off
	s_cbranch_execnz .LBB1_14
.LBB1_13:                               ;   in Loop: Header=BB1_10 Depth=1
	s_waitcnt vmcnt(0)
	v_add_u32_e32 v7, s25, v2
.LBB1_14:                               ;   in Loop: Header=BB1_10 Depth=1
	s_or_b64 exec, exec, s[12:13]
	v_ashrrev_i32_e32 v3, 31, v2
	v_lshlrev_b64 v[4:5], 2, v[2:3]
	v_add_co_u32_e32 v8, vcc, s33, v4
	v_addc_co_u32_e32 v9, vcc, v1, v5, vcc
	v_mov_b32_e32 v3, 0
	s_waitcnt vmcnt(0)
	global_store_dword v[8:9], v7, off
	s_and_saveexec_b64 s[12:13], s[2:3]
	s_cbranch_execz .LBB1_9
; %bb.15:                               ;   in Loop: Header=BB1_10 Depth=1
	v_mov_b32_e32 v3, s17
	v_add_co_u32_e32 v8, vcc, s16, v4
	v_addc_co_u32_e32 v9, vcc, v3, v5, vcc
	global_load_dword v3, v[8:9], off
	s_branch .LBB1_9
.LBB1_16:                               ;   in Loop: Header=BB1_10 Depth=1
                                        ; implicit-def: $vgpr7
	s_branch .LBB1_13
.LBB1_17:
	s_or_b64 exec, exec, s[8:9]
	s_mov_b64 s[0:1], 0
.LBB1_18:
	s_andn2_b64 vcc, exec, s[0:1]
	s_cbranch_vccnz .LBB1_825
; %bb.19:
	s_load_dwordx4 s[0:3], s[4:5], 0x20
	s_mul_i32 s5, s24, 0x300
	s_mul_hi_u32 s4, s24, 0x300
	s_mul_i32 s9, s24, 0x6000
	v_mov_b32_e32 v29, 0
	s_waitcnt lgkmcnt(0)
	s_add_u32 s28, s0, s5
	s_addc_u32 s29, s1, s4
	s_mul_hi_u32 s8, s24, 0x6000
	s_add_u32 s42, s2, s9
	v_mov_b32_e32 v27, v29
	v_mov_b32_e32 v1, s6
	s_addc_u32 s43, s3, s8
	v_mad_u64_u32 v[24:25], s[0:1], s74, v1, v[26:27]
	s_and_b32 s44, s16, 15
	s_sub_i32 s0, 16, s44
	s_mov_b32 s45, 0
	s_lshr_b32 s0, s0, 2
	s_cmp_lg_u64 s[44:45], 0
	s_cselect_b32 s0, s0, 0
	s_min_i32 s36, s0, s7
	s_ashr_i32 s37, s36, 31
	s_lshl_b64 s[0:1], s[36:37], 2
	s_add_u32 s24, s16, s0
	s_addc_u32 s70, s17, s1
	s_sub_i32 s0, s7, s36
	s_ashr_i32 s1, s0, 31
	s_lshr_b32 s1, s1, 30
	s_mul_hi_u32 s31, s74, s79
	s_mul_i32 s30, s74, s79
	s_add_i32 s4, s0, s1
	s_ashr_i32 s34, s4, 2
	s_mul_i32 s2, s31, 3
	s_mul_hi_u32 s0, s30, 3
	s_lshl_b32 s65, s30, 2
	s_add_i32 s71, s0, s2
	s_ashr_i32 s35, s34, 31
	s_lshl_b64 s[38:39], s[30:31], 4
	s_add_u32 s75, s24, s38
	s_addc_u32 s76, s70, s39
	v_ashrrev_i32_e32 v21, 31, v24
	v_mov_b32_e32 v20, v24
	v_mad_u64_u32 v[22:23], s[0:1], s30, 3, v[20:21]
	s_add_u32 s77, s75, s38
	s_addc_u32 s78, s76, s39
	s_and_b32 s0, s4, -4
	v_add_u32_e32 v23, s2, v23
	v_cmp_gt_u64_e64 s[2:3], s[36:37], v[24:25]
	v_lshlrev_b64 v[4:5], 2, v[24:25]
	s_add_i32 s0, s0, s36
	v_bfe_u32 v25, v0, 20, 10
	v_bfe_u32 v27, v0, 10, 10
	v_lshrrev_b32_e32 v0, 3, v26
	v_lshlrev_b32_e32 v30, 2, v26
	v_mov_b32_e32 v1, s17
	v_add_co_u32_e32 v16, vcc, s16, v4
	v_add_u32_e32 v4, s0, v24
	v_and_b32_e32 v0, 0x7c, v0
	v_addc_co_u32_e32 v17, vcc, v1, v5, vcc
	v_ashrrev_i32_e32 v5, 31, v4
	v_add_u32_e32 v52, v30, v0
	v_or_b32_e32 v0, 0x400, v26
	v_lshlrev_b64 v[6:7], 2, v[4:5]
	v_lshrrev_b32_e32 v0, 3, v0
	v_add_co_u32_e32 v14, vcc, s16, v6
	v_and_b32_e32 v0, 0xfc, v0
	v_addc_co_u32_e32 v15, vcc, v1, v7, vcc
	v_add_u32_e32 v53, v30, v0
	v_lshlrev_b32_e32 v0, 1, v26
	v_lshrrev_b32_e32 v1, 4, v26
	v_add_lshl_u32 v54, v1, v0, 2
	v_lshlrev_b32_e32 v0, 4, v26
	v_lshrrev_b32_e32 v1, 1, v26
	v_add_lshl_u32 v55, v1, v0, 2
	v_add_u32_e32 v0, -1, v26
	v_lshrrev_b32_e32 v1, 5, v0
	v_mov_b32_e32 v2, v29
	v_mov_b32_e32 v3, v24
	v_add_lshl_u32 v56, v1, v0, 2
	v_or_b32_e32 v0, s6, v26
	v_cmp_eq_u32_e64 s[12:13], 0, v0
	v_ashrrev_i64 v[0:1], 30, v[2:3]
	v_mov_b32_e32 v2, s27
	v_add_co_u32_e32 v18, vcc, s26, v0
	v_addc_co_u32_e32 v19, vcc, v2, v1, vcc
	v_cvt_f32_u32_e32 v1, s74
	s_add_i32 s79, s79, -1
	s_lshl_b32 s80, s74, 8
	s_mov_b64 s[4:5], src_shared_base
	v_rcp_iflag_f32_e32 v1, v1
	v_add_co_u32_e32 v12, vcc, s26, v6
	s_cmp_eq_u64 s[26:27], 0
	v_mul_f32_e32 v1, 0x4f7ffffe, v1
	v_addc_co_u32_e32 v13, vcc, v2, v7, vcc
	v_add_u32_e32 v0, s74, v26
	s_movk_i32 s4, 0x800
	v_cvt_u32_f32_e32 v1, v1
	s_cselect_b64 s[46:47], -1, 0
	s_cmp_lg_u64 s[26:27], 0
	v_mov_b32_e32 v3, s74
	v_cmp_gt_u32_e32 vcc, s4, v0
	v_cmp_gt_i32_e64 s[0:1], s7, v4
	v_mov_b32_e32 v33, s5
	v_mov_b32_e32 v35, s5
	s_cselect_b64 s[6:7], -1, 0
	v_max_u32_e32 v2, 0x800, v0
	v_addc_co_u32_e64 v0, s[4:5], v26, v3, vcc
	s_cmp_eq_u32 s74, 1
	s_cselect_b64 s[14:15], -1, 0
	s_sub_i32 s4, 0, s74
	v_sub_u32_e32 v0, v2, v0
	v_mul_lo_u32 v2, s4, v1
	v_mul_hi_u32 v2, v1, v2
	v_add_u32_e32 v1, v1, v2
	v_mul_hi_u32 v1, v0, v1
	v_mul_lo_u32 v2, v1, s74
	v_sub_u32_e32 v0, v0, v2
	v_add_u32_e32 v2, 1, v1
	v_cmp_le_u32_e64 s[4:5], s74, v0
	v_cndmask_b32_e64 v1, v1, v2, s[4:5]
	v_subrev_u32_e32 v2, s74, v0
	v_cndmask_b32_e64 v0, v0, v2, s[4:5]
	v_add_u32_e32 v2, 1, v1
	v_cmp_le_u32_e64 s[4:5], s74, v0
	v_cndmask_b32_e64 v0, v1, v2, s[4:5]
	v_addc_co_u32_e64 v1, s[4:5], 1, v0, vcc
	v_cmp_lt_u32_e64 s[4:5], 1, v1
	s_and_b64 s[48:49], s[4:5], s[14:15]
	s_lshl_b32 s81, s74, 1
	s_add_u32 s31, s26, 4
	v_addc_co_u32_e32 v0, vcc, -1, v0, vcc
	s_addc_u32 s37, s27, 0
	v_lshrrev_b32_e32 v3, 1, v0
	s_add_u32 s66, s26, 8
	v_add_u32_e32 v3, 1, v3
	v_cmp_lt_u32_e64 s[14:15], 13, v0
	s_addc_u32 s67, s27, 0
	v_mov_b32_e32 v0, s43
	v_add_co_u32_e32 v38, vcc, s42, v30
	v_and_b32_e32 v2, -2, v1
	v_and_b32_e32 v57, 7, v3
	s_add_u32 s68, s26, 12
	v_addc_co_u32_e32 v39, vcc, 0, v0, vcc
	v_mbcnt_lo_u32_b32 v0, -1, 0
	s_mul_i32 s72, s30, 3
	v_cmp_gt_u64_e64 s[8:9], s[34:35], v[22:23]
	v_add_u32_e32 v32, 0x2100, v30
	v_add_u32_e32 v34, 0x3100, v30
	v_cmp_gt_u32_e64 s[10:11], 64, v26
	v_add_u32_e32 v51, s25, v24
	v_add_u32_e32 v50, s25, v4
	v_mad_u64_u32 v[36:37], s[4:5], v2, s74, v[26:27]
	v_and_b32_e32 v58, -8, v3
	v_cmp_ne_u32_e64 s[16:17], 0, v57
	v_cmp_ne_u32_e64 s[18:19], v1, v2
	s_addc_u32 s69, s27, 0
	s_lshl_b32 s82, s74, 6
	s_lshl_b32 s83, s74, 3
	;; [unrolled: 1-line block ×3, first 2 shown]
	v_mov_b32_e32 v31, v29
	s_mov_b32 s85, s45
	s_lshl_b32 s86, s74, 4
	s_mul_i32 s87, s74, 6
	s_mul_i32 s88, s74, 10
	;; [unrolled: 1-line block ×4, first 2 shown]
	s_mov_b32 s91, s45
	v_add_u32_e32 v59, 0x20fc, v30
	s_movk_i32 s92, 0x7ff
	v_mov_b32_e32 v60, 1
	v_bfrev_b32_e32 v61, -2
	v_mbcnt_hi_u32_b32 v62, -1, v0
	v_mov_b32_e32 v63, 0x2100
	s_mov_b64 s[50:51], s[42:43]
	s_mov_b32 s93, 0
	s_branch .LBB1_22
.LBB1_20:                               ;   in Loop: Header=BB1_22 Depth=1
	s_mov_b64 s[4:5], -1
	s_mov_b64 s[52:53], -1
                                        ; implicit-def: $sgpr93
                                        ; implicit-def: $vgpr38_vgpr39
                                        ; implicit-def: $sgpr50_sgpr51
                                        ; implicit-def: $sgpr94
.LBB1_21:                               ;   in Loop: Header=BB1_22 Depth=1
	s_and_b64 vcc, exec, s[52:53]
	s_cbranch_vccnz .LBB1_643
.LBB1_22:                               ; =>This Loop Header: Depth=1
                                        ;     Child Loop BB1_26 Depth 2
                                        ;     Child Loop BB1_30 Depth 2
	;; [unrolled: 1-line block ×15, first 2 shown]
	v_mov_b32_e32 v0, 0x4204
	s_waitcnt lgkmcnt(0)
	ds_read2_b32 v[40:41], v0 offset1:1
	s_waitcnt lgkmcnt(0)
	v_cmp_eq_u32_e32 vcc, 0, v41
	s_cbranch_vccnz .LBB1_20
; %bb.23:                               ;   in Loop: Header=BB1_22 Depth=1
	s_mov_b64 s[52:53], -1
	v_mov_b32_e32 v0, v26
	v_mov_b32_e32 v1, v30
	s_and_saveexec_b64 s[4:5], s[48:49]
	s_cbranch_execz .LBB1_34
; %bb.24:                               ;   in Loop: Header=BB1_22 Depth=1
	v_mov_b32_e32 v2, 0
	s_and_saveexec_b64 s[52:53], s[14:15]
	s_cbranch_execz .LBB1_28
; %bb.25:                               ;   in Loop: Header=BB1_22 Depth=1
	s_mov_b32 s44, 0
	s_mov_b64 s[54:55], 0
	v_mov_b32_e32 v0, v58
	v_mov_b32_e32 v1, v32
.LBB1_26:                               ;   Parent Loop BB1_22 Depth=1
                                        ; =>  This Inner Loop Header: Depth=2
	v_add_u32_e32 v2, s83, v1
	s_waitcnt vmcnt(0)
	v_add_u32_e32 v3, s83, v2
	ds_write2_b32 v1, v29, v29 offset1:1
	ds_write2_b32 v2, v29, v29 offset1:1
	;; [unrolled: 1-line block ×3, first 2 shown]
	v_add_u32_e32 v3, s83, v3
	ds_write2_b32 v3, v29, v29 offset1:1
	v_add_u32_e32 v3, s83, v3
	v_add_u32_e32 v0, -8, v0
	ds_write2_b32 v3, v29, v29 offset1:1
	v_add_u32_e32 v3, s83, v3
	s_add_i32 s44, s44, 16
	v_cmp_eq_u32_e32 vcc, 0, v0
	ds_write2_b32 v3, v29, v29 offset1:1
	v_add_u32_e32 v3, s83, v3
	v_add_u32_e32 v1, s82, v1
	v_mov_b32_e32 v2, s44
	s_or_b64 s[54:55], vcc, s[54:55]
	ds_write2_b32 v3, v29, v29 offset1:1
	v_add_u32_e32 v3, s83, v3
	ds_write2_b32 v3, v29, v29 offset1:1
	s_andn2_b64 exec, exec, s[54:55]
	s_cbranch_execnz .LBB1_26
; %bb.27:                               ;   in Loop: Header=BB1_22 Depth=1
	s_or_b64 exec, exec, s[54:55]
.LBB1_28:                               ;   in Loop: Header=BB1_22 Depth=1
	s_or_b64 exec, exec, s[52:53]
	s_and_saveexec_b64 s[52:53], s[16:17]
	s_cbranch_execz .LBB1_31
; %bb.29:                               ;   in Loop: Header=BB1_22 Depth=1
	v_mad_u64_u32 v[0:1], s[54:55], s84, v2, v[32:33]
	s_mov_b64 s[54:55], 0
	v_mov_b32_e32 v1, v57
.LBB1_30:                               ;   Parent Loop BB1_22 Depth=1
                                        ; =>  This Inner Loop Header: Depth=2
	v_add_u32_e32 v1, -1, v1
	v_cmp_eq_u32_e32 vcc, 0, v1
	ds_write2_b32 v0, v29, v29 offset1:1
	s_or_b64 s[54:55], vcc, s[54:55]
	v_add_u32_e32 v0, s83, v0
	s_andn2_b64 exec, exec, s[54:55]
	s_cbranch_execnz .LBB1_30
.LBB1_31:                               ;   in Loop: Header=BB1_22 Depth=1
	s_or_b64 exec, exec, s[52:53]
	s_mov_b64 s[52:53], 0
                                        ; implicit-def: $vgpr1
	s_and_saveexec_b64 s[54:55], s[18:19]
	s_xor_b64 s[54:55], exec, s[54:55]
; %bb.32:                               ;   in Loop: Header=BB1_22 Depth=1
	s_mov_b64 s[52:53], exec
	v_lshlrev_b32_e32 v1, 2, v36
; %bb.33:                               ;   in Loop: Header=BB1_22 Depth=1
	s_or_b64 exec, exec, s[54:55]
	s_orn2_b64 s[52:53], s[52:53], exec
	v_mov_b32_e32 v0, v36
.LBB1_34:                               ;   in Loop: Header=BB1_22 Depth=1
	s_or_b64 exec, exec, s[4:5]
	s_and_saveexec_b64 s[4:5], s[52:53]
	s_cbranch_execz .LBB1_37
; %bb.35:                               ;   in Loop: Header=BB1_22 Depth=1
	v_add_u32_e32 v1, 0x2100, v1
	s_mov_b64 s[52:53], 0
.LBB1_36:                               ;   Parent Loop BB1_22 Depth=1
                                        ; =>  This Inner Loop Header: Depth=2
	v_add_u32_e32 v0, s74, v0
	v_cmp_lt_u32_e32 vcc, s92, v0
	ds_write_b32 v1, v29
	s_or_b64 s[52:53], vcc, s[52:53]
	v_add_u32_e32 v1, s84, v1
	s_andn2_b64 exec, exec, s[52:53]
	s_cbranch_execnz .LBB1_36
.LBB1_37:                               ;   in Loop: Header=BB1_22 Depth=1
	s_or_b64 exec, exec, s[4:5]
	v_cmp_ne_u32_e32 vcc, v41, v40
	s_mul_i32 s94, s93, -11
	s_waitcnt lgkmcnt(0)
	s_barrier
	s_cbranch_vccz .LBB1_74
; %bb.38:                               ;   in Loop: Header=BB1_22 Depth=1
	s_max_i32 s58, s94, 0xffffffeb
	s_add_i32 s58, s58, 21
	s_cmp_lg_u32 s93, 0
	s_cbranch_scc0 .LBB1_75
; %bb.39:                               ;   in Loop: Header=BB1_22 Depth=1
	ds_read_b32 v28, v29 offset:16896
	s_add_i32 s44, s94, 32
	v_mov_b32_e32 v42, v24
	s_and_saveexec_b64 s[4:5], s[8:9]
	s_cbranch_execz .LBB1_77
; %bb.40:                               ;   in Loop: Header=BB1_22 Depth=1
	s_lshl_b32 s56, -1, s44
	s_mov_b64 s[52:53], 0
	v_pk_mov_b32 v[8:9], v[22:23], v[22:23] op_sel:[0,1]
	v_pk_mov_b32 v[42:43], v[20:21], v[20:21] op_sel:[0,1]
	s_branch .LBB1_42
.LBB1_41:                               ;   in Loop: Header=BB1_42 Depth=2
	s_or_b64 exec, exec, s[54:55]
	v_add_u32_e32 v42, s65, v42
	v_ashrrev_i32_e32 v43, 31, v42
	v_mov_b32_e32 v0, s71
	v_add_co_u32_e32 v8, vcc, s72, v42
	v_addc_co_u32_e32 v9, vcc, v0, v43, vcc
	v_cmp_le_u64_e32 vcc, s[34:35], v[8:9]
	s_or_b64 s[52:53], vcc, s[52:53]
	s_andn2_b64 exec, exec, s[52:53]
	s_cbranch_execz .LBB1_76
.LBB1_42:                               ;   Parent Loop BB1_22 Depth=1
                                        ; =>  This Inner Loop Header: Depth=2
	v_lshlrev_b64 v[10:11], 4, v[42:43]
	v_mov_b32_e32 v1, s70
	v_add_co_u32_e32 v0, vcc, s24, v10
	v_addc_co_u32_e32 v1, vcc, v1, v11, vcc
	global_load_dwordx4 v[0:3], v[0:1], off
	s_waitcnt vmcnt(1)
	v_mov_b32_e32 v5, s76
	v_add_co_u32_e32 v4, vcc, s75, v10
	v_addc_co_u32_e32 v5, vcc, v5, v11, vcc
	global_load_dwordx4 v[4:7], v[4:5], off
	s_waitcnt vmcnt(1)
	v_cmp_gt_i32_e32 vcc, 0, v0
	v_cndmask_b32_e64 v37, v61, 0, vcc
	v_xor_b32_e32 v0, v37, v0
	v_and_b32_e32 v37, s56, v0
	s_waitcnt lgkmcnt(0)
	v_cmp_eq_u32_e32 vcc, v37, v28
	s_and_saveexec_b64 s[54:55], vcc
	s_cbranch_execz .LBB1_44
; %bb.43:                               ;   in Loop: Header=BB1_42 Depth=2
	v_bfe_u32 v0, v0, s58, 11
	v_lshlrev_b32_e32 v0, 2, v0
	ds_add_u32 v0, v60 offset:8448
.LBB1_44:                               ;   in Loop: Header=BB1_42 Depth=2
	s_or_b64 exec, exec, s[54:55]
	v_cmp_gt_i32_e32 vcc, 0, v1
	v_cndmask_b32_e64 v0, v61, 0, vcc
	v_xor_b32_e32 v0, v0, v1
	v_and_b32_e32 v1, s56, v0
	v_cmp_eq_u32_e32 vcc, v1, v28
	s_and_saveexec_b64 s[54:55], vcc
	s_cbranch_execz .LBB1_46
; %bb.45:                               ;   in Loop: Header=BB1_42 Depth=2
	v_bfe_u32 v0, v0, s58, 11
	v_lshlrev_b32_e32 v0, 2, v0
	ds_add_u32 v0, v60 offset:8448
.LBB1_46:                               ;   in Loop: Header=BB1_42 Depth=2
	s_or_b64 exec, exec, s[54:55]
	v_cmp_gt_i32_e32 vcc, 0, v2
	v_cndmask_b32_e64 v0, v61, 0, vcc
	v_xor_b32_e32 v0, v0, v2
	v_and_b32_e32 v1, s56, v0
	;; [unrolled: 13-line block ×3, first 2 shown]
	v_cmp_eq_u32_e32 vcc, v1, v28
	s_and_saveexec_b64 s[54:55], vcc
	s_cbranch_execz .LBB1_50
; %bb.49:                               ;   in Loop: Header=BB1_42 Depth=2
	v_bfe_u32 v0, v0, s58, 11
	v_lshlrev_b32_e32 v0, 2, v0
	ds_add_u32 v0, v60 offset:8448
.LBB1_50:                               ;   in Loop: Header=BB1_42 Depth=2
	s_or_b64 exec, exec, s[54:55]
	v_mov_b32_e32 v1, s78
	v_add_co_u32_e32 v0, vcc, s77, v10
	v_addc_co_u32_e32 v1, vcc, v1, v11, vcc
	v_lshlrev_b64 v[2:3], 4, v[8:9]
	v_mov_b32_e32 v8, s70
	v_add_co_u32_e32 v2, vcc, s24, v2
	v_addc_co_u32_e32 v3, vcc, v8, v3, vcc
	global_load_dwordx4 v[8:11], v[0:1], off
	s_nop 0
	global_load_dwordx4 v[0:3], v[2:3], off
	s_waitcnt vmcnt(2)
	v_cmp_gt_i32_e32 vcc, 0, v4
	v_cndmask_b32_e64 v37, v61, 0, vcc
	v_xor_b32_e32 v4, v37, v4
	v_and_b32_e32 v37, s56, v4
	v_cmp_eq_u32_e32 vcc, v37, v28
	s_and_saveexec_b64 s[54:55], vcc
	s_cbranch_execz .LBB1_52
; %bb.51:                               ;   in Loop: Header=BB1_42 Depth=2
	v_bfe_u32 v4, v4, s58, 11
	v_lshlrev_b32_e32 v4, 2, v4
	ds_add_u32 v4, v60 offset:8448
.LBB1_52:                               ;   in Loop: Header=BB1_42 Depth=2
	s_or_b64 exec, exec, s[54:55]
	v_cmp_gt_i32_e32 vcc, 0, v5
	v_cndmask_b32_e64 v4, v61, 0, vcc
	v_xor_b32_e32 v4, v4, v5
	v_and_b32_e32 v5, s56, v4
	v_cmp_eq_u32_e32 vcc, v5, v28
	s_and_saveexec_b64 s[54:55], vcc
	s_cbranch_execz .LBB1_54
; %bb.53:                               ;   in Loop: Header=BB1_42 Depth=2
	v_bfe_u32 v4, v4, s58, 11
	v_lshlrev_b32_e32 v4, 2, v4
	ds_add_u32 v4, v60 offset:8448
.LBB1_54:                               ;   in Loop: Header=BB1_42 Depth=2
	s_or_b64 exec, exec, s[54:55]
	v_cmp_gt_i32_e32 vcc, 0, v6
	v_cndmask_b32_e64 v4, v61, 0, vcc
	v_xor_b32_e32 v4, v4, v6
	v_and_b32_e32 v5, s56, v4
	v_cmp_eq_u32_e32 vcc, v5, v28
	s_and_saveexec_b64 s[54:55], vcc
	s_cbranch_execz .LBB1_56
; %bb.55:                               ;   in Loop: Header=BB1_42 Depth=2
	v_bfe_u32 v4, v4, s58, 11
	v_lshlrev_b32_e32 v4, 2, v4
	ds_add_u32 v4, v60 offset:8448
.LBB1_56:                               ;   in Loop: Header=BB1_42 Depth=2
	s_or_b64 exec, exec, s[54:55]
	v_cmp_gt_i32_e32 vcc, 0, v7
	v_cndmask_b32_e64 v4, v61, 0, vcc
	v_xor_b32_e32 v4, v4, v7
	v_and_b32_e32 v5, s56, v4
	v_cmp_eq_u32_e32 vcc, v5, v28
	s_and_saveexec_b64 s[54:55], vcc
	s_cbranch_execz .LBB1_58
; %bb.57:                               ;   in Loop: Header=BB1_42 Depth=2
	v_bfe_u32 v4, v4, s58, 11
	v_lshlrev_b32_e32 v4, 2, v4
	ds_add_u32 v4, v60 offset:8448
.LBB1_58:                               ;   in Loop: Header=BB1_42 Depth=2
	s_or_b64 exec, exec, s[54:55]
	s_waitcnt vmcnt(1)
	v_cmp_gt_i32_e32 vcc, 0, v8
	v_cndmask_b32_e64 v4, v61, 0, vcc
	v_xor_b32_e32 v4, v4, v8
	v_and_b32_e32 v5, s56, v4
	v_cmp_eq_u32_e32 vcc, v5, v28
	s_and_saveexec_b64 s[54:55], vcc
	s_cbranch_execz .LBB1_60
; %bb.59:                               ;   in Loop: Header=BB1_42 Depth=2
	v_bfe_u32 v4, v4, s58, 11
	v_lshlrev_b32_e32 v4, 2, v4
	ds_add_u32 v4, v60 offset:8448
.LBB1_60:                               ;   in Loop: Header=BB1_42 Depth=2
	s_or_b64 exec, exec, s[54:55]
	v_cmp_gt_i32_e32 vcc, 0, v9
	v_cndmask_b32_e64 v4, v61, 0, vcc
	v_xor_b32_e32 v4, v4, v9
	v_and_b32_e32 v5, s56, v4
	v_cmp_eq_u32_e32 vcc, v5, v28
	s_and_saveexec_b64 s[54:55], vcc
	s_cbranch_execz .LBB1_62
; %bb.61:                               ;   in Loop: Header=BB1_42 Depth=2
	v_bfe_u32 v4, v4, s58, 11
	v_lshlrev_b32_e32 v4, 2, v4
	ds_add_u32 v4, v60 offset:8448
.LBB1_62:                               ;   in Loop: Header=BB1_42 Depth=2
	s_or_b64 exec, exec, s[54:55]
	;; [unrolled: 13-line block ×4, first 2 shown]
	s_waitcnt vmcnt(0)
	v_cmp_gt_i32_e32 vcc, 0, v0
	v_cndmask_b32_e64 v4, v61, 0, vcc
	v_xor_b32_e32 v0, v4, v0
	v_and_b32_e32 v4, s56, v0
	v_cmp_eq_u32_e32 vcc, v4, v28
	s_and_saveexec_b64 s[54:55], vcc
	s_cbranch_execz .LBB1_68
; %bb.67:                               ;   in Loop: Header=BB1_42 Depth=2
	v_bfe_u32 v0, v0, s58, 11
	v_lshlrev_b32_e32 v0, 2, v0
	ds_add_u32 v0, v60 offset:8448
.LBB1_68:                               ;   in Loop: Header=BB1_42 Depth=2
	s_or_b64 exec, exec, s[54:55]
	v_cmp_gt_i32_e32 vcc, 0, v1
	v_cndmask_b32_e64 v0, v61, 0, vcc
	v_xor_b32_e32 v0, v0, v1
	v_and_b32_e32 v1, s56, v0
	v_cmp_eq_u32_e32 vcc, v1, v28
	s_and_saveexec_b64 s[54:55], vcc
	s_cbranch_execz .LBB1_70
; %bb.69:                               ;   in Loop: Header=BB1_42 Depth=2
	v_bfe_u32 v0, v0, s58, 11
	v_lshlrev_b32_e32 v0, 2, v0
	ds_add_u32 v0, v60 offset:8448
.LBB1_70:                               ;   in Loop: Header=BB1_42 Depth=2
	s_or_b64 exec, exec, s[54:55]
	;; [unrolled: 13-line block ×3, first 2 shown]
	v_cmp_gt_i32_e32 vcc, 0, v3
	v_cndmask_b32_e64 v0, v61, 0, vcc
	v_xor_b32_e32 v0, v0, v3
	v_and_b32_e32 v1, s56, v0
	v_cmp_eq_u32_e32 vcc, v1, v28
	s_and_saveexec_b64 s[54:55], vcc
	s_cbranch_execz .LBB1_41
; %bb.73:                               ;   in Loop: Header=BB1_42 Depth=2
	v_bfe_u32 v0, v0, s58, 11
	v_lshlrev_b32_e32 v0, 2, v0
	ds_add_u32 v0, v60 offset:8448
	s_branch .LBB1_41
.LBB1_74:                               ;   in Loop: Header=BB1_22 Depth=1
	s_mov_b64 s[52:53], -1
	s_mov_b64 s[4:5], 0
                                        ; implicit-def: $sgpr93
                                        ; implicit-def: $vgpr38_vgpr39
                                        ; implicit-def: $sgpr50_sgpr51
	s_branch .LBB1_21
.LBB1_75:                               ;   in Loop: Header=BB1_22 Depth=1
	s_mov_b64 s[52:53], 0
                                        ; implicit-def: $vgpr0
	s_cbranch_execnz .LBB1_96
	s_branch .LBB1_108
.LBB1_76:                               ;   in Loop: Header=BB1_22 Depth=1
	s_or_b64 exec, exec, s[52:53]
.LBB1_77:                               ;   in Loop: Header=BB1_22 Depth=1
	s_or_b64 exec, exec, s[4:5]
	v_cmp_gt_i32_e32 vcc, s34, v42
	s_and_saveexec_b64 s[4:5], vcc
	s_cbranch_execz .LBB1_88
; %bb.78:                               ;   in Loop: Header=BB1_22 Depth=1
	s_lshl_b32 s56, -1, s44
	s_mov_b64 s[52:53], 0
	s_branch .LBB1_80
.LBB1_79:                               ;   in Loop: Header=BB1_80 Depth=2
	s_or_b64 exec, exec, s[54:55]
	v_add_u32_e32 v42, s30, v42
	v_cmp_le_i32_e32 vcc, s34, v42
	s_or_b64 s[52:53], vcc, s[52:53]
	s_andn2_b64 exec, exec, s[52:53]
	s_cbranch_execz .LBB1_88
.LBB1_80:                               ;   Parent Loop BB1_22 Depth=1
                                        ; =>  This Inner Loop Header: Depth=2
	v_ashrrev_i32_e32 v43, 31, v42
	v_lshlrev_b64 v[0:1], 4, v[42:43]
	v_mov_b32_e32 v2, s70
	v_add_co_u32_e32 v0, vcc, s24, v0
	v_addc_co_u32_e32 v1, vcc, v2, v1, vcc
	global_load_dwordx4 v[0:3], v[0:1], off
	s_waitcnt vmcnt(0)
	v_cmp_gt_i32_e32 vcc, 0, v0
	v_cndmask_b32_e64 v4, v61, 0, vcc
	v_xor_b32_e32 v0, v4, v0
	v_and_b32_e32 v4, s56, v0
	s_waitcnt lgkmcnt(0)
	v_cmp_eq_u32_e32 vcc, v4, v28
	s_and_saveexec_b64 s[54:55], vcc
	s_cbranch_execz .LBB1_82
; %bb.81:                               ;   in Loop: Header=BB1_80 Depth=2
	v_bfe_u32 v0, v0, s58, 11
	v_lshlrev_b32_e32 v0, 2, v0
	ds_add_u32 v0, v60 offset:8448
.LBB1_82:                               ;   in Loop: Header=BB1_80 Depth=2
	s_or_b64 exec, exec, s[54:55]
	v_cmp_gt_i32_e32 vcc, 0, v1
	v_cndmask_b32_e64 v0, v61, 0, vcc
	v_xor_b32_e32 v0, v0, v1
	v_and_b32_e32 v1, s56, v0
	v_cmp_eq_u32_e32 vcc, v1, v28
	s_and_saveexec_b64 s[54:55], vcc
	s_cbranch_execz .LBB1_84
; %bb.83:                               ;   in Loop: Header=BB1_80 Depth=2
	v_bfe_u32 v0, v0, s58, 11
	v_lshlrev_b32_e32 v0, 2, v0
	ds_add_u32 v0, v60 offset:8448
.LBB1_84:                               ;   in Loop: Header=BB1_80 Depth=2
	s_or_b64 exec, exec, s[54:55]
	v_cmp_gt_i32_e32 vcc, 0, v2
	v_cndmask_b32_e64 v0, v61, 0, vcc
	v_xor_b32_e32 v0, v0, v2
	v_and_b32_e32 v1, s56, v0
	;; [unrolled: 13-line block ×3, first 2 shown]
	v_cmp_eq_u32_e32 vcc, v1, v28
	s_and_saveexec_b64 s[54:55], vcc
	s_cbranch_execz .LBB1_79
; %bb.87:                               ;   in Loop: Header=BB1_80 Depth=2
	v_bfe_u32 v0, v0, s58, 11
	v_lshlrev_b32_e32 v0, 2, v0
	ds_add_u32 v0, v60 offset:8448
	s_branch .LBB1_79
.LBB1_88:                               ;   in Loop: Header=BB1_22 Depth=1
	s_or_b64 exec, exec, s[4:5]
	s_and_saveexec_b64 s[4:5], s[2:3]
	s_cbranch_execz .LBB1_91
; %bb.89:                               ;   in Loop: Header=BB1_22 Depth=1
	global_load_dword v0, v[16:17], off
	s_lshl_b32 s52, -1, s44
	s_waitcnt vmcnt(0)
	v_cmp_gt_i32_e32 vcc, 0, v0
	v_cndmask_b32_e64 v1, v61, 0, vcc
	v_xor_b32_e32 v0, v1, v0
	v_and_b32_e32 v1, s52, v0
	s_waitcnt lgkmcnt(0)
	v_cmp_eq_u32_e32 vcc, v1, v28
	s_and_b64 exec, exec, vcc
	s_cbranch_execz .LBB1_91
; %bb.90:                               ;   in Loop: Header=BB1_22 Depth=1
	v_bfe_u32 v0, v0, s58, 11
	v_lshlrev_b32_e32 v0, 2, v0
	ds_add_u32 v0, v60 offset:8448
.LBB1_91:                               ;   in Loop: Header=BB1_22 Depth=1
	s_or_b64 exec, exec, s[4:5]
	s_mov_b64 s[4:5], 0
	s_mov_b64 s[52:53], 0
                                        ; implicit-def: $vgpr0
	s_and_saveexec_b64 s[54:55], s[0:1]
	s_cbranch_execz .LBB1_95
; %bb.92:                               ;   in Loop: Header=BB1_22 Depth=1
	global_load_dword v0, v[14:15], off
	s_lshl_b32 s44, -1, s44
	s_waitcnt vmcnt(0)
	v_cmp_gt_i32_e32 vcc, 0, v0
	v_cndmask_b32_e64 v1, v61, 0, vcc
	v_xor_b32_e32 v1, v1, v0
	v_and_b32_e32 v0, s44, v1
	s_waitcnt lgkmcnt(0)
	v_cmp_eq_u32_e32 vcc, v0, v28
                                        ; implicit-def: $vgpr0
	s_and_saveexec_b64 s[56:57], vcc
	s_xor_b64 s[56:57], exec, s[56:57]
; %bb.93:                               ;   in Loop: Header=BB1_22 Depth=1
	s_mov_b64 s[52:53], exec
	v_bfe_u32 v0, v1, s58, 11
; %bb.94:                               ;   in Loop: Header=BB1_22 Depth=1
	s_or_b64 exec, exec, s[56:57]
	s_and_b64 s[52:53], s[52:53], exec
.LBB1_95:                               ;   in Loop: Header=BB1_22 Depth=1
	s_or_b64 exec, exec, s[54:55]
	s_and_b64 vcc, exec, s[4:5]
	s_cbranch_vccz .LBB1_108
.LBB1_96:                               ;   in Loop: Header=BB1_22 Depth=1
	v_mov_b32_e32 v8, v24
	s_and_saveexec_b64 s[54:55], s[8:9]
	s_cbranch_execz .LBB1_100
; %bb.97:                               ;   in Loop: Header=BB1_22 Depth=1
	s_mov_b64 s[56:57], 0
	v_pk_mov_b32 v[10:11], v[22:23], v[22:23] op_sel:[0,1]
	v_pk_mov_b32 v[8:9], v[20:21], v[20:21] op_sel:[0,1]
.LBB1_98:                               ;   Parent Loop BB1_22 Depth=1
                                        ; =>  This Inner Loop Header: Depth=2
	s_waitcnt vmcnt(0)
	v_lshlrev_b64 v[4:5], 4, v[8:9]
	v_mov_b32_e32 v9, s70
	v_add_co_u32_e32 v0, vcc, s24, v4
	v_addc_co_u32_e32 v1, vcc, v9, v5, vcc
	global_load_dwordx4 v[0:3], v[0:1], off
	s_waitcnt lgkmcnt(0)
	v_mov_b32_e32 v28, s76
	v_lshlrev_b64 v[6:7], 4, v[10:11]
	v_add_co_u32_e32 v10, vcc, s75, v4
	v_addc_co_u32_e32 v11, vcc, v28, v5, vcc
	global_load_dwordx4 v[42:45], v[10:11], off
	v_mov_b32_e32 v37, s78
	v_add_co_u32_e32 v4, vcc, s77, v4
	v_addc_co_u32_e32 v5, vcc, v37, v5, vcc
	v_add_co_u32_e32 v46, vcc, s24, v6
	v_addc_co_u32_e32 v47, vcc, v9, v7, vcc
	v_add_u32_e32 v8, s65, v8
	v_mov_b32_e32 v11, s71
	s_waitcnt vmcnt(1)
	v_cmp_gt_i32_e32 vcc, 0, v0
	v_cndmask_b32_e64 v6, v61, 0, vcc
	v_cmp_gt_i32_e32 vcc, 0, v1
	v_cndmask_b32_e64 v7, v61, 0, vcc
	;; [unrolled: 2-line block ×4, first 2 shown]
	v_xor_b32_e32 v0, v6, v0
	v_xor_b32_e32 v1, v7, v1
	;; [unrolled: 1-line block ×4, first 2 shown]
	v_bfe_u32 v0, v0, s58, 11
	v_bfe_u32 v1, v1, s58, 11
	;; [unrolled: 1-line block ×4, first 2 shown]
	v_lshlrev_b32_e32 v0, 2, v0
	v_lshlrev_b32_e32 v1, 2, v1
	v_lshlrev_b32_e32 v2, 2, v2
	v_lshlrev_b32_e32 v3, 2, v3
	ds_add_u32 v0, v60 offset:8448
	ds_add_u32 v1, v60 offset:8448
	;; [unrolled: 1-line block ×4, first 2 shown]
	global_load_dwordx4 v[4:7], v[4:5], off
	s_nop 0
	global_load_dwordx4 v[0:3], v[46:47], off
	s_waitcnt vmcnt(2)
	v_cmp_gt_i32_e64 s[4:5], 0, v42
	v_cndmask_b32_e64 v28, v61, 0, s[4:5]
	v_cmp_gt_i32_e64 s[4:5], 0, v43
	v_cndmask_b32_e64 v37, v61, 0, s[4:5]
	;; [unrolled: 2-line block ×4, first 2 shown]
	v_xor_b32_e32 v28, v28, v42
	v_xor_b32_e32 v37, v37, v43
	;; [unrolled: 1-line block ×4, first 2 shown]
	v_bfe_u32 v28, v28, s58, 11
	v_bfe_u32 v37, v37, s58, 11
	;; [unrolled: 1-line block ×4, first 2 shown]
	v_lshlrev_b32_e32 v28, 2, v28
	v_lshlrev_b32_e32 v37, 2, v37
	;; [unrolled: 1-line block ×4, first 2 shown]
	ds_add_u32 v28, v60 offset:8448
	ds_add_u32 v37, v60 offset:8448
	ds_add_u32 v41, v60 offset:8448
	ds_add_u32 v42, v60 offset:8448
	v_ashrrev_i32_e32 v9, 31, v8
	v_add_co_u32_e32 v10, vcc, s72, v8
	v_addc_co_u32_e32 v11, vcc, v11, v9, vcc
	v_cmp_le_u64_e32 vcc, s[34:35], v[10:11]
	s_or_b64 s[56:57], vcc, s[56:57]
	s_waitcnt vmcnt(1)
	v_cmp_gt_i32_e64 s[4:5], 0, v4
	v_cndmask_b32_e64 v28, v61, 0, s[4:5]
	v_cmp_gt_i32_e64 s[4:5], 0, v5
	v_cndmask_b32_e64 v37, v61, 0, s[4:5]
	;; [unrolled: 2-line block ×4, first 2 shown]
	s_waitcnt vmcnt(0)
	v_cmp_gt_i32_e64 s[4:5], 0, v0
	v_cndmask_b32_e64 v43, v61, 0, s[4:5]
	v_cmp_gt_i32_e64 s[4:5], 0, v1
	v_cndmask_b32_e64 v44, v61, 0, s[4:5]
	;; [unrolled: 2-line block ×4, first 2 shown]
	v_xor_b32_e32 v4, v28, v4
	v_xor_b32_e32 v5, v37, v5
	;; [unrolled: 1-line block ×8, first 2 shown]
	v_bfe_u32 v4, v4, s58, 11
	v_bfe_u32 v5, v5, s58, 11
	;; [unrolled: 1-line block ×8, first 2 shown]
	v_lshlrev_b32_e32 v4, 2, v4
	v_lshlrev_b32_e32 v5, 2, v5
	;; [unrolled: 1-line block ×8, first 2 shown]
	ds_add_u32 v4, v60 offset:8448
	ds_add_u32 v5, v60 offset:8448
	;; [unrolled: 1-line block ×8, first 2 shown]
	s_andn2_b64 exec, exec, s[56:57]
	s_cbranch_execnz .LBB1_98
; %bb.99:                               ;   in Loop: Header=BB1_22 Depth=1
	s_or_b64 exec, exec, s[56:57]
.LBB1_100:                              ;   in Loop: Header=BB1_22 Depth=1
	s_or_b64 exec, exec, s[54:55]
	v_cmp_gt_i32_e32 vcc, s34, v8
	s_and_saveexec_b64 s[4:5], vcc
	s_cbranch_execz .LBB1_103
; %bb.101:                              ;   in Loop: Header=BB1_22 Depth=1
	s_mov_b64 s[54:55], 0
.LBB1_102:                              ;   Parent Loop BB1_22 Depth=1
                                        ; =>  This Inner Loop Header: Depth=2
	v_ashrrev_i32_e32 v9, 31, v8
	v_lshlrev_b64 v[0:1], 4, v[8:9]
	v_mov_b32_e32 v2, s70
	v_add_co_u32_e32 v0, vcc, s24, v0
	v_addc_co_u32_e32 v1, vcc, v2, v1, vcc
	global_load_dwordx4 v[0:3], v[0:1], off
	v_add_u32_e32 v8, s30, v8
	s_waitcnt vmcnt(0)
	v_cmp_gt_i32_e32 vcc, 0, v0
	v_cndmask_b32_e64 v4, v61, 0, vcc
	v_cmp_gt_i32_e32 vcc, 0, v1
	v_cndmask_b32_e64 v5, v61, 0, vcc
	;; [unrolled: 2-line block ×3, first 2 shown]
	v_cmp_gt_i32_e32 vcc, 0, v3
	v_xor_b32_e32 v0, v4, v0
	v_cndmask_b32_e64 v7, v61, 0, vcc
	v_xor_b32_e32 v1, v5, v1
	v_xor_b32_e32 v2, v6, v2
	v_bfe_u32 v0, v0, s58, 11
	v_xor_b32_e32 v3, v7, v3
	v_bfe_u32 v1, v1, s58, 11
	v_bfe_u32 v2, v2, s58, 11
	v_lshlrev_b32_e32 v0, 2, v0
	v_bfe_u32 v3, v3, s58, 11
	v_lshlrev_b32_e32 v1, 2, v1
	v_lshlrev_b32_e32 v2, 2, v2
	ds_add_u32 v0, v60 offset:8448
	ds_add_u32 v1, v60 offset:8448
	;; [unrolled: 1-line block ×3, first 2 shown]
	v_lshlrev_b32_e32 v0, 2, v3
	ds_add_u32 v0, v60 offset:8448
	v_cmp_le_i32_e32 vcc, s34, v8
	s_or_b64 s[54:55], vcc, s[54:55]
	s_andn2_b64 exec, exec, s[54:55]
	s_cbranch_execnz .LBB1_102
.LBB1_103:                              ;   in Loop: Header=BB1_22 Depth=1
	s_or_b64 exec, exec, s[4:5]
	s_and_saveexec_b64 s[4:5], s[2:3]
	s_cbranch_execz .LBB1_105
; %bb.104:                              ;   in Loop: Header=BB1_22 Depth=1
	global_load_dword v0, v[16:17], off
	s_waitcnt vmcnt(0)
	v_cmp_gt_i32_e32 vcc, 0, v0
	v_cndmask_b32_e64 v1, v61, 0, vcc
	v_xor_b32_e32 v0, v1, v0
	v_bfe_u32 v0, v0, s58, 11
	v_lshlrev_b32_e32 v0, 2, v0
	ds_add_u32 v0, v60 offset:8448
.LBB1_105:                              ;   in Loop: Header=BB1_22 Depth=1
	s_or_b64 exec, exec, s[4:5]
                                        ; implicit-def: $vgpr0
	s_and_saveexec_b64 s[4:5], s[0:1]
	s_cbranch_execz .LBB1_107
; %bb.106:                              ;   in Loop: Header=BB1_22 Depth=1
	global_load_dword v0, v[14:15], off
	s_or_b64 s[52:53], s[52:53], exec
	s_waitcnt vmcnt(0)
	v_cmp_gt_i32_e32 vcc, 0, v0
	v_cndmask_b32_e64 v1, v61, 0, vcc
	v_xor_b32_e32 v0, v1, v0
	v_bfe_u32 v0, v0, s58, 11
.LBB1_107:                              ;   in Loop: Header=BB1_22 Depth=1
	s_or_b64 exec, exec, s[4:5]
.LBB1_108:                              ;   in Loop: Header=BB1_22 Depth=1
	s_and_saveexec_b64 s[4:5], s[52:53]
	s_cbranch_execz .LBB1_110
; %bb.109:                              ;   in Loop: Header=BB1_22 Depth=1
	v_lshlrev_b32_e32 v0, 2, v0
	ds_add_u32 v0, v60 offset:8448
.LBB1_110:                              ;   in Loop: Header=BB1_22 Depth=1
	s_or_b64 exec, exec, s[4:5]
	s_mov_b64 s[4:5], 0
	v_mov_b32_e32 v2, v32
	v_pk_mov_b32 v[0:1], v[38:39], v[38:39] op_sel:[0,1]
	s_waitcnt vmcnt(0)
	v_mov_b32_e32 v3, v26
	s_waitcnt lgkmcnt(0)
	s_barrier
	s_branch .LBB1_112
.LBB1_111:                              ;   in Loop: Header=BB1_112 Depth=2
	s_or_b64 exec, exec, s[52:53]
	v_mov_b32_e32 v4, s85
	v_add_co_u32_e32 v0, vcc, s84, v0
	v_add_u32_e32 v3, s74, v3
	v_addc_co_u32_e32 v1, vcc, v1, v4, vcc
	v_cmp_lt_u32_e32 vcc, s92, v3
	s_or_b64 s[4:5], vcc, s[4:5]
	v_add_u32_e32 v2, s84, v2
	s_andn2_b64 exec, exec, s[4:5]
	s_cbranch_execz .LBB1_114
.LBB1_112:                              ;   Parent Loop BB1_22 Depth=1
                                        ; =>  This Inner Loop Header: Depth=2
	ds_read_b32 v4, v2
	s_waitcnt lgkmcnt(0)
	v_cmp_ne_u32_e32 vcc, 0, v4
	s_and_saveexec_b64 s[52:53], vcc
	s_cbranch_execz .LBB1_111
; %bb.113:                              ;   in Loop: Header=BB1_112 Depth=2
	global_atomic_add v[0:1], v4, off
	s_branch .LBB1_111
.LBB1_114:                              ;   in Loop: Header=BB1_22 Depth=1
	s_or_b64 exec, exec, s[4:5]
	s_mov_b64 s[4:5], 0
	s_barrier
	s_and_saveexec_b64 s[52:53], s[22:23]
	s_cbranch_execz .LBB1_116
; %bb.115:                              ;   in Loop: Header=BB1_22 Depth=1
	v_mov_b32_e32 v0, s79
	global_atomic_inc v0, v29, v0, s[28:29] offset:256 glc
	s_waitcnt vmcnt(0)
	v_cmp_eq_u32_e32 vcc, s79, v0
	s_and_b64 s[4:5], vcc, exec
.LBB1_116:                              ;   in Loop: Header=BB1_22 Depth=1
	s_or_b64 exec, exec, s[52:53]
	global_load_dword v0, v29, s[40:41] offset:14
	v_cndmask_b32_e64 v1, 0, 1, s[4:5]
	s_waitcnt vmcnt(0)
	v_readfirstlane_b32 s4, v0
	v_or_b32_dpp v1, v1, v1 row_shl:1 row_mask:0xf bank_mask:0xf bound_ctrl:1
	s_lshr_b32 s52, s4, 16
	s_and_b32 s4, s4, 0xffff
	v_or_b32_dpp v1, v1, v1 row_shl:2 row_mask:0xf bank_mask:0xf bound_ctrl:1
	s_mul_i32 s53, s80, s4
	s_ashr_i32 s53, s53, 8
	v_or_b32_dpp v1, v1, v1 row_shl:4 row_mask:0xf bank_mask:0xf bound_ctrl:1
	s_mul_i32 s52, s53, s52
	s_add_i32 s52, s52, 63
	v_or_b32_dpp v1, v1, v1 row_shl:8 row_mask:0xf bank_mask:0xf bound_ctrl:1
	s_bitcmp1_b32 exec_hi, 0
	s_nop 0
	v_mov_b32_dpp v2, v1 wave_shl:1 row_mask:0xf bank_mask:0xf bound_ctrl:1
	s_nop 1
	v_or_b32_dpp v1, v2, v1 row_mirror row_mask:0xf bank_mask:0xf bound_ctrl:1
	v_readlane_b32 s5, v1, 32
	v_readlane_b32 s44, v1, 0
	s_cselect_b32 s5, s5, 0
	s_or_b32 s44, s5, s44
	s_andn2_b32 s52, s52, 63
	s_cmp_eq_u32 s52, 64
	v_mov_b32_e32 v0, s44
	s_cbranch_scc1 .LBB1_123
; %bb.117:                              ;   in Loop: Header=BB1_22 Depth=1
	v_mad_u32_u24 v0, v25, s4, v27
	v_mad_u64_u32 v[0:1], s[4:5], v0, s74, v[26:27]
	v_lshrrev_b32_e32 v1, 6, v0
	v_or_b32_e32 v1, v62, v1
	v_cmp_eq_u32_e32 vcc, 0, v1
	s_and_saveexec_b64 s[4:5], vcc
	s_cbranch_execz .LBB1_119
; %bb.118:                              ;   in Loop: Header=BB1_22 Depth=1
	v_mov_b32_e32 v1, s44
	ds_write_b32 v29, v1 offset:16640
.LBB1_119:                              ;   in Loop: Header=BB1_22 Depth=1
	s_or_b64 exec, exec, s[4:5]
	v_cmp_eq_u32_e32 vcc, 0, v62
	v_cmp_lt_u32_e64 s[4:5], 63, v0
	s_and_b64 s[52:53], s[4:5], vcc
	s_waitcnt lgkmcnt(0)
	s_barrier
	s_and_saveexec_b64 s[4:5], s[52:53]
	s_cbranch_execz .LBB1_122
; %bb.120:                              ;   in Loop: Header=BB1_22 Depth=1
	v_mbcnt_lo_u32_b32 v0, exec_lo, 0
	v_mbcnt_hi_u32_b32 v0, exec_hi, v0
	v_cmp_eq_u32_e32 vcc, 0, v0
	s_and_b64 exec, exec, vcc
	s_cbranch_execz .LBB1_122
; %bb.121:                              ;   in Loop: Header=BB1_22 Depth=1
	v_mov_b32_e32 v0, s44
	ds_or_b32 v29, v0 offset:16640
.LBB1_122:                              ;   in Loop: Header=BB1_22 Depth=1
	s_or_b64 exec, exec, s[4:5]
	s_waitcnt lgkmcnt(0)
	s_barrier
	ds_read_b32 v0, v29 offset:16640
	s_waitcnt lgkmcnt(0)
	s_barrier
.LBB1_123:                              ;   in Loop: Header=BB1_22 Depth=1
	v_cmp_eq_u32_e32 vcc, 0, v0
	s_cbranch_vccnz .LBB1_127
; %bb.124:                              ;   in Loop: Header=BB1_22 Depth=1
	s_and_saveexec_b64 s[4:5], s[22:23]
	s_cbranch_execz .LBB1_126
; %bb.125:                              ;   in Loop: Header=BB1_22 Depth=1
	s_add_i32 s44, s93, 1
	v_pk_mov_b32 v[0:1], s[28:29], s[28:29] op_sel:[0,1]
	v_mov_b32_e32 v2, s44
	buffer_wbl2
	flat_store_dword v[0:1], v2 offset:640
.LBB1_126:                              ;   in Loop: Header=BB1_22 Depth=1
	s_or_b64 exec, exec, s[4:5]
	s_cbranch_execz .LBB1_128
	s_branch .LBB1_133
.LBB1_127:                              ;   in Loop: Header=BB1_22 Depth=1
.LBB1_128:                              ;   in Loop: Header=BB1_22 Depth=1
	s_and_saveexec_b64 s[4:5], s[22:23]
	s_cbranch_execz .LBB1_132
; %bb.129:                              ;   in Loop: Header=BB1_22 Depth=1
	v_pk_mov_b32 v[0:1], s[28:29], s[28:29] op_sel:[0,1]
	flat_load_dword v0, v[0:1] offset:640 glc
	s_waitcnt vmcnt(0) lgkmcnt(0)
	buffer_invl2
	buffer_wbinvl1_vol
	v_cmp_ge_u32_e32 vcc, s93, v0
	s_and_b64 exec, exec, vcc
	s_cbranch_execz .LBB1_132
; %bb.130:                              ;   in Loop: Header=BB1_22 Depth=1
	s_mov_b64 s[52:53], 0
.LBB1_131:                              ;   Parent Loop BB1_22 Depth=1
                                        ; =>  This Inner Loop Header: Depth=2
	v_pk_mov_b32 v[0:1], s[28:29], s[28:29] op_sel:[0,1]
	s_sleep 1
	flat_load_dword v0, v[0:1] offset:640 glc
	s_waitcnt vmcnt(0) lgkmcnt(0)
	buffer_invl2
	buffer_wbinvl1_vol
	v_readfirstlane_b32 s44, v0
	s_cmp_gt_u32 s44, s93
	s_cselect_b64 s[54:55], -1, 0
	s_and_b64 s[54:55], exec, s[54:55]
	s_or_b64 s[52:53], s[54:55], s[52:53]
	s_andn2_b64 exec, exec, s[52:53]
	s_cbranch_execnz .LBB1_131
.LBB1_132:                              ;   in Loop: Header=BB1_22 Depth=1
	s_or_b64 exec, exec, s[4:5]
	s_waitcnt lgkmcnt(0)
	s_barrier
.LBB1_133:                              ;   in Loop: Header=BB1_22 Depth=1
	s_mov_b64 s[52:53], -1
	v_mov_b32_e32 v2, v26
	v_pk_mov_b32 v[0:1], v[30:31], v[30:31] op_sel:[0,1]
	v_mov_b32_e32 v3, v30
	s_and_saveexec_b64 s[4:5], s[48:49]
	s_cbranch_execz .LBB1_144
; %bb.134:                              ;   in Loop: Header=BB1_22 Depth=1
	s_lshl_b32 s44, s93, 11
	s_lshl_b64 s[52:53], s[44:45], 2
	s_add_u32 s44, s42, s52
	s_addc_u32 s56, s43, s53
	v_mov_b32_e32 v5, 0
	s_and_saveexec_b64 s[52:53], s[14:15]
	s_cbranch_execz .LBB1_138
; %bb.135:                              ;   in Loop: Header=BB1_22 Depth=1
	s_mov_b32 s57, 0
	s_mov_b64 s[54:55], 0
	v_mov_b32_e32 v2, v58
	v_mov_b32_e32 v3, v32
	v_pk_mov_b32 v[0:1], v[38:39], v[38:39] op_sel:[0,1]
	v_mov_b32_e32 v4, v26
.LBB1_136:                              ;   Parent Loop BB1_22 Depth=1
                                        ; =>  This Inner Loop Header: Depth=2
	global_load_dwordx2 v[6:7], v[0:1], off
	v_add_u32_e32 v28, s81, v4
	v_mov_b32_e32 v5, s56
	v_add_u32_e32 v8, s83, v3
	v_add_u32_e32 v2, -8, v2
	s_add_i32 s57, s57, 16
	s_waitcnt vmcnt(0)
	ds_write2_b32 v3, v6, v7 offset1:1
	v_lshlrev_b64 v[6:7], 2, v[28:29]
	v_add_co_u32_e32 v6, vcc, s44, v6
	v_addc_co_u32_e32 v7, vcc, v5, v7, vcc
	global_load_dwordx2 v[6:7], v[6:7], off
	v_add_u32_e32 v28, s84, v4
	v_add_u32_e32 v3, s82, v3
	s_waitcnt vmcnt(0)
	ds_write2_b32 v8, v6, v7 offset1:1
	v_lshlrev_b64 v[6:7], 2, v[28:29]
	v_add_co_u32_e32 v6, vcc, s44, v6
	v_addc_co_u32_e32 v7, vcc, v5, v7, vcc
	global_load_dwordx2 v[6:7], v[6:7], off
	v_add_u32_e32 v8, s83, v8
	v_add_u32_e32 v28, s87, v4
	;; [unrolled: 8-line block ×6, first 2 shown]
	v_add_u32_e32 v4, s86, v4
	s_waitcnt vmcnt(0)
	ds_write2_b32 v8, v6, v7 offset1:1
	v_lshlrev_b64 v[6:7], 2, v[28:29]
	v_add_co_u32_e32 v6, vcc, s44, v6
	v_addc_co_u32_e32 v7, vcc, v5, v7, vcc
	global_load_dwordx2 v[6:7], v[6:7], off
	v_add_u32_e32 v5, s83, v8
	v_add_co_u32_e32 v0, vcc, s82, v0
	s_waitcnt vmcnt(0)
	ds_write2_b32 v5, v6, v7 offset1:1
	v_mov_b32_e32 v5, s91
	v_addc_co_u32_e32 v1, vcc, v1, v5, vcc
	v_cmp_eq_u32_e32 vcc, 0, v2
	s_or_b64 s[54:55], vcc, s[54:55]
	v_mov_b32_e32 v5, s57
	s_andn2_b64 exec, exec, s[54:55]
	s_cbranch_execnz .LBB1_136
; %bb.137:                              ;   in Loop: Header=BB1_22 Depth=1
	s_or_b64 exec, exec, s[54:55]
.LBB1_138:                              ;   in Loop: Header=BB1_22 Depth=1
	s_or_b64 exec, exec, s[52:53]
	s_and_saveexec_b64 s[52:53], s[16:17]
	s_cbranch_execz .LBB1_141
; %bb.139:                              ;   in Loop: Header=BB1_22 Depth=1
	v_add_u32_e32 v28, v26, v5
	v_lshl_add_u32 v0, v28, 2, v63
	s_mov_b64 s[54:55], 0
	v_mov_b32_e32 v1, v57
.LBB1_140:                              ;   Parent Loop BB1_22 Depth=1
                                        ; =>  This Inner Loop Header: Depth=2
	v_lshlrev_b64 v[2:3], 2, v[28:29]
	v_mov_b32_e32 v4, s56
	v_add_co_u32_e32 v2, vcc, s44, v2
	v_addc_co_u32_e32 v3, vcc, v4, v3, vcc
	global_load_dwordx2 v[2:3], v[2:3], off
	v_add_u32_e32 v1, -1, v1
	v_cmp_eq_u32_e32 vcc, 0, v1
	v_add_u32_e32 v28, s81, v28
	s_or_b64 s[54:55], vcc, s[54:55]
	s_waitcnt vmcnt(0)
	ds_write2_b32 v0, v2, v3 offset1:1
	v_add_u32_e32 v0, s83, v0
	s_andn2_b64 exec, exec, s[54:55]
	s_cbranch_execnz .LBB1_140
.LBB1_141:                              ;   in Loop: Header=BB1_22 Depth=1
	s_or_b64 exec, exec, s[52:53]
	s_mov_b64 s[52:53], 0
                                        ; implicit-def: $vgpr0_vgpr1
                                        ; implicit-def: $vgpr3
	s_and_saveexec_b64 s[54:55], s[18:19]
	s_xor_b64 s[54:55], exec, s[54:55]
; %bb.142:                              ;   in Loop: Header=BB1_22 Depth=1
	v_mov_b32_e32 v37, v29
	s_mov_b64 s[52:53], exec
	v_lshlrev_b64 v[0:1], 2, v[36:37]
	v_lshlrev_b32_e32 v3, 2, v36
; %bb.143:                              ;   in Loop: Header=BB1_22 Depth=1
	s_or_b64 exec, exec, s[54:55]
	s_orn2_b64 s[52:53], s[52:53], exec
	v_mov_b32_e32 v2, v36
.LBB1_144:                              ;   in Loop: Header=BB1_22 Depth=1
	s_or_b64 exec, exec, s[4:5]
	s_and_saveexec_b64 s[4:5], s[52:53]
	s_cbranch_execz .LBB1_147
; %bb.145:                              ;   in Loop: Header=BB1_22 Depth=1
	v_mov_b32_e32 v4, s51
	v_add_co_u32_e32 v0, vcc, s50, v0
	v_addc_co_u32_e32 v1, vcc, v4, v1, vcc
	v_add_u32_e32 v3, 0x2100, v3
	s_mov_b64 s[52:53], 0
.LBB1_146:                              ;   Parent Loop BB1_22 Depth=1
                                        ; =>  This Inner Loop Header: Depth=2
	global_load_dword v4, v[0:1], off
	v_mov_b32_e32 v5, s85
	v_add_co_u32_e32 v0, vcc, s84, v0
	v_add_u32_e32 v2, s74, v2
	v_addc_co_u32_e32 v1, vcc, v1, v5, vcc
	v_cmp_lt_u32_e32 vcc, s92, v2
	s_or_b64 s[52:53], vcc, s[52:53]
	s_waitcnt vmcnt(0)
	ds_write_b32 v3, v4
	v_add_u32_e32 v3, s84, v3
	s_andn2_b64 exec, exec, s[52:53]
	s_cbranch_execnz .LBB1_146
.LBB1_147:                              ;   in Loop: Header=BB1_22 Depth=1
	s_or_b64 exec, exec, s[4:5]
	s_waitcnt lgkmcnt(0)
	s_barrier
	flat_load_dword v0, v[32:33] glc
	s_waitcnt vmcnt(0)
	flat_load_dword v1, v[34:35] glc
	s_waitcnt vmcnt(0) lgkmcnt(0)
	ds_write_b32 v52, v0
	ds_write_b32 v53, v1 offset:4096
	s_waitcnt lgkmcnt(0)
	s_barrier
	ds_read2_b32 v[0:1], v54 offset1:1
	s_waitcnt lgkmcnt(0)
	s_barrier
	v_add_u32_e32 v2, v1, v0
	ds_write_b32 v52, v2
	s_waitcnt lgkmcnt(0)
	s_barrier
	s_and_saveexec_b64 s[4:5], s[10:11]
	s_cbranch_execz .LBB1_149
; %bb.148:                              ;   in Loop: Header=BB1_22 Depth=1
	ds_read2_b32 v[4:5], v55 offset1:1
	ds_read2_b32 v[6:7], v55 offset0:2 offset1:3
	ds_read2_b32 v[8:9], v55 offset0:4 offset1:5
	;; [unrolled: 1-line block ×7, first 2 shown]
	s_waitcnt lgkmcnt(7)
	v_add_u32_e32 v3, v5, v4
	s_waitcnt lgkmcnt(6)
	v_add3_u32 v3, v3, v6, v7
	s_waitcnt lgkmcnt(5)
	v_add3_u32 v3, v3, v8, v9
	s_waitcnt lgkmcnt(4)
	v_add3_u32 v3, v3, v10, v11
	s_waitcnt lgkmcnt(3)
	v_add3_u32 v3, v3, v42, v43
	s_waitcnt lgkmcnt(2)
	v_add3_u32 v3, v3, v44, v45
	s_waitcnt lgkmcnt(1)
	v_add3_u32 v3, v3, v46, v47
	s_waitcnt lgkmcnt(0)
	v_add3_u32 v3, v3, v48, v49
	v_and_b32_e32 v28, 15, v62
	v_cmp_ne_u32_e32 vcc, 0, v28
	v_mov_b32_dpp v37, v3 row_shr:1 row_mask:0xf bank_mask:0xf
	v_cndmask_b32_e32 v37, 0, v37, vcc
	v_add_u32_e32 v3, v37, v3
	v_cmp_lt_u32_e32 vcc, 1, v28
	s_nop 0
	v_mov_b32_dpp v37, v3 row_shr:2 row_mask:0xf bank_mask:0xf
	v_cndmask_b32_e32 v37, 0, v37, vcc
	v_add_u32_e32 v3, v3, v37
	v_cmp_lt_u32_e32 vcc, 3, v28
	s_nop 0
	;; [unrolled: 5-line block ×3, first 2 shown]
	v_mov_b32_dpp v37, v3 row_shr:8 row_mask:0xf bank_mask:0xf
	v_cndmask_b32_e32 v28, 0, v37, vcc
	v_add_u32_e32 v3, v3, v28
	v_bfe_i32 v37, v62, 4, 1
	v_cmp_lt_u32_e32 vcc, 31, v62
	v_mov_b32_dpp v28, v3 row_bcast:15 row_mask:0xf bank_mask:0xf
	v_and_b32_e32 v28, v37, v28
	v_add_u32_e32 v3, v3, v28
	v_and_b32_e32 v37, 64, v62
	s_nop 0
	v_mov_b32_dpp v28, v3 row_bcast:31 row_mask:0xf bank_mask:0xf
	v_cndmask_b32_e32 v28, 0, v28, vcc
	v_add_u32_e32 v3, v3, v28
	v_add_u32_e32 v28, -1, v62
	v_cmp_lt_i32_e32 vcc, v28, v37
	v_cndmask_b32_e32 v28, v28, v62, vcc
	v_lshlrev_b32_e32 v28, 2, v28
	ds_bpermute_b32 v3, v28, v3
	s_waitcnt lgkmcnt(0)
	v_add_u32_e32 v3, v3, v4
	v_cndmask_b32_e64 v2, v3, v2, s[22:23]
	v_add_u32_e32 v3, v2, v5
	ds_write2_b32 v55, v2, v3 offset1:1
	v_add_u32_e32 v2, v3, v6
	v_add_u32_e32 v3, v2, v7
	ds_write2_b32 v55, v2, v3 offset0:2 offset1:3
	v_add_u32_e32 v2, v3, v8
	v_add_u32_e32 v3, v2, v9
	ds_write2_b32 v55, v2, v3 offset0:4 offset1:5
	;; [unrolled: 3-line block ×7, first 2 shown]
.LBB1_149:                              ;   in Loop: Header=BB1_22 Depth=1
	s_or_b64 exec, exec, s[4:5]
	v_mov_b32_e32 v2, 0
	s_waitcnt lgkmcnt(0)
	s_barrier
	s_and_saveexec_b64 s[4:5], s[20:21]
	s_cbranch_execz .LBB1_151
; %bb.150:                              ;   in Loop: Header=BB1_22 Depth=1
	ds_read_b32 v2, v56
.LBB1_151:                              ;   in Loop: Header=BB1_22 Depth=1
	s_or_b64 exec, exec, s[4:5]
	s_waitcnt lgkmcnt(0)
	v_add_u32_e32 v0, v2, v0
	v_add_u32_e32 v1, v0, v1
	s_barrier
	ds_write2_b32 v54, v0, v1 offset1:1
	s_waitcnt lgkmcnt(0)
	s_barrier
	ds_read_b32 v0, v52
	ds_read_b32 v1, v53 offset:4096
	s_waitcnt lgkmcnt(1)
	flat_store_dword v[32:33], v0
	s_waitcnt vmcnt(0) lgkmcnt(0)
	flat_store_dword v[34:35], v1
	s_waitcnt vmcnt(0) lgkmcnt(0)
	s_barrier
	ds_read_b32 v0, v29 offset:16896
	s_mov_b64 s[52:53], 0
	v_mov_b32_e32 v3, v59
	v_mov_b32_e32 v4, v26
	s_branch .LBB1_153
.LBB1_152:                              ;   in Loop: Header=BB1_153 Depth=2
	s_or_b64 exec, exec, s[4:5]
	v_add_u32_e32 v4, s74, v4
	v_cmp_lt_u32_e32 vcc, s92, v4
	s_or_b64 s[52:53], vcc, s[52:53]
	v_add_u32_e32 v3, s84, v3
	s_andn2_b64 exec, exec, s[52:53]
	s_cbranch_execz .LBB1_157
.LBB1_153:                              ;   Parent Loop BB1_22 Depth=1
                                        ; =>  This Inner Loop Header: Depth=2
	v_cmp_ne_u32_e32 vcc, 0, v4
	v_mov_b32_e32 v2, 0
	s_and_saveexec_b64 s[4:5], vcc
	s_cbranch_execz .LBB1_155
; %bb.154:                              ;   in Loop: Header=BB1_153 Depth=2
	ds_read_b32 v2, v3
.LBB1_155:                              ;   in Loop: Header=BB1_153 Depth=2
	s_or_b64 exec, exec, s[4:5]
	ds_read_b32 v5, v3 offset:4
	s_waitcnt lgkmcnt(1)
	v_cmp_gt_i32_e32 vcc, v40, v2
	s_waitcnt lgkmcnt(0)
	v_cmp_ge_i32_e64 s[4:5], v5, v40
	s_and_b64 s[54:55], vcc, s[4:5]
	s_and_saveexec_b64 s[4:5], s[54:55]
	s_cbranch_execz .LBB1_152
; %bb.156:                              ;   in Loop: Header=BB1_153 Depth=2
	v_sub_u32_e32 v1, v40, v2
	v_sub_u32_e32 v2, v5, v2
	v_lshl_or_b32 v0, v4, s58, v0
	ds_write_b96 v29, v[0:2] offset:16896
	s_branch .LBB1_152
.LBB1_157:                              ;   in Loop: Header=BB1_22 Depth=1
	s_or_b64 exec, exec, s[52:53]
	s_cmp_eq_u32 s93, 2
	s_waitcnt lgkmcnt(0)
	s_barrier
	s_cbranch_scc0 .LBB1_642
; %bb.158:                              ;   in Loop: Header=BB1_22 Depth=1
	ds_read_b64 v[40:41], v29 offset:16896
	s_and_saveexec_b64 s[4:5], s[12:13]
	s_cbranch_execz .LBB1_160
; %bb.159:                              ;   in Loop: Header=BB1_22 Depth=1
	s_waitcnt lgkmcnt(0)
	global_store_dword v29, v41, s[28:29]
	global_store_dword v29, v40, s[28:29] offset:12
.LBB1_160:                              ;   in Loop: Header=BB1_22 Depth=1
	s_or_b64 exec, exec, s[4:5]
	v_mov_b32_e32 v42, v24
	s_and_saveexec_b64 s[4:5], s[8:9]
	s_cbranch_execz .LBB1_516
; %bb.161:                              ;   in Loop: Header=BB1_22 Depth=1
	s_mov_b64 s[52:53], 0
	v_pk_mov_b32 v[44:45], v[22:23], v[22:23] op_sel:[0,1]
	v_pk_mov_b32 v[42:43], v[20:21], v[20:21] op_sel:[0,1]
	s_branch .LBB1_163
.LBB1_162:                              ;   in Loop: Header=BB1_163 Depth=2
	s_or_b64 exec, exec, s[54:55]
	v_add_u32_e32 v42, s65, v42
	v_ashrrev_i32_e32 v43, 31, v42
	v_mov_b32_e32 v0, s71
	v_add_co_u32_e32 v44, vcc, s72, v42
	v_addc_co_u32_e32 v45, vcc, v0, v43, vcc
	v_cmp_le_u64_e32 vcc, s[34:35], v[44:45]
	s_or_b64 s[52:53], vcc, s[52:53]
	s_andn2_b64 exec, exec, s[52:53]
	s_cbranch_execz .LBB1_515
.LBB1_163:                              ;   Parent Loop BB1_22 Depth=1
                                        ; =>  This Inner Loop Header: Depth=2
	v_lshlrev_b64 v[0:1], 4, v[42:43]
	v_mov_b32_e32 v2, s70
	v_add_co_u32_e32 v4, vcc, s24, v0
	s_waitcnt vmcnt(0)
	v_addc_co_u32_e32 v5, vcc, v2, v1, vcc
	global_load_dwordx4 v[0:3], v[4:5], off
	v_mov_b32_e32 v6, s39
	v_add_co_u32_e32 v8, vcc, s38, v4
	v_addc_co_u32_e32 v9, vcc, v5, v6, vcc
	global_load_dwordx4 v[4:7], v[8:9], off
	v_lshl_add_u32 v10, v42, 2, s36
	s_mov_b64 s[56:57], 0
                                        ; implicit-def: $vgpr46_vgpr47
	s_waitcnt vmcnt(1)
	v_cmp_gt_i32_e32 vcc, 0, v0
	v_cndmask_b32_e64 v11, v61, 0, vcc
	v_xor_b32_e32 v28, v11, v0
	s_waitcnt lgkmcnt(0)
	v_cmp_ge_u32_e32 vcc, v28, v40
                                        ; implicit-def: $vgpr11
	s_and_saveexec_b64 s[54:55], vcc
	s_xor_b64 s[54:55], exec, s[54:55]
	s_cbranch_execz .LBB1_170
; %bb.164:                              ;   in Loop: Header=BB1_163 Depth=2
	v_cmp_eq_u32_e32 vcc, v28, v40
	s_mov_b64 s[58:59], 0
                                        ; implicit-def: $vgpr11
                                        ; implicit-def: $vgpr46_vgpr47
	s_and_saveexec_b64 s[56:57], vcc
	s_cbranch_execz .LBB1_182
; %bb.165:                              ;   in Loop: Header=BB1_163 Depth=2
	s_mov_b64 s[60:61], exec
	v_mbcnt_lo_u32_b32 v11, s60, 0
	v_mbcnt_hi_u32_b32 v11, s61, v11
	v_cmp_eq_u32_e32 vcc, 0, v11
                                        ; implicit-def: $vgpr28
	s_and_saveexec_b64 s[58:59], vcc
	s_cbranch_execz .LBB1_167
; %bb.166:                              ;   in Loop: Header=BB1_163 Depth=2
	s_bcnt1_i32_b64 s44, s[60:61]
	v_mov_b32_e32 v28, s44
	global_atomic_add v28, v29, v28, s[28:29] offset:512 glc
.LBB1_167:                              ;   in Loop: Header=BB1_163 Depth=2
	s_or_b64 exec, exec, s[58:59]
	s_waitcnt vmcnt(0)
	v_readfirstlane_b32 s44, v28
	v_add_u32_e32 v28, s44, v11
	v_cmp_lt_i32_e32 vcc, v28, v41
	s_mov_b64 s[60:61], 0
                                        ; implicit-def: $vgpr11
                                        ; implicit-def: $vgpr46_vgpr47
	s_and_saveexec_b64 s[58:59], vcc
	s_xor_b64 s[58:59], exec, s[58:59]
	s_cbranch_execz .LBB1_181
; %bb.168:                              ;   in Loop: Header=BB1_163 Depth=2
	v_xad_u32 v46, v28, -1, s73
	v_ashrrev_i32_e32 v47, 31, v46
	v_lshlrev_b64 v[48:49], 2, v[46:47]
	v_mov_b32_e32 v11, s64
	v_add_co_u32_e32 v48, vcc, s63, v48
	v_addc_co_u32_e32 v49, vcc, v11, v49, vcc
	s_andn2_b64 vcc, exec, s[6:7]
	global_store_dword v[48:49], v0, off
	s_cbranch_vccnz .LBB1_178
; %bb.169:                              ;   in Loop: Header=BB1_163 Depth=2
	v_ashrrev_i32_e32 v11, 31, v10
	v_lshlrev_b64 v[48:49], 2, v[10:11]
	v_mov_b32_e32 v11, s27
	v_add_co_u32_e32 v48, vcc, s26, v48
	v_addc_co_u32_e32 v49, vcc, v11, v49, vcc
	global_load_dword v11, v[48:49], off
	s_andn2_b64 vcc, exec, s[60:61]
	s_cbranch_vccz .LBB1_179
	s_branch .LBB1_180
.LBB1_170:                              ;   in Loop: Header=BB1_163 Depth=2
	s_andn2_saveexec_b64 s[54:55], s[54:55]
	s_cbranch_execz .LBB1_183
.LBB1_171:                              ;   in Loop: Header=BB1_163 Depth=2
	s_mov_b64 s[60:61], exec
	s_waitcnt vmcnt(0)
	v_mbcnt_lo_u32_b32 v11, s60, 0
	v_mbcnt_hi_u32_b32 v11, s61, v11
	v_cmp_eq_u32_e32 vcc, 0, v11
                                        ; implicit-def: $vgpr28
	s_and_saveexec_b64 s[58:59], vcc
	s_cbranch_execz .LBB1_173
; %bb.172:                              ;   in Loop: Header=BB1_163 Depth=2
	s_bcnt1_i32_b64 s44, s[60:61]
	v_mov_b32_e32 v28, s44
	global_atomic_add v28, v29, v28, s[28:29] offset:384 glc
.LBB1_173:                              ;   in Loop: Header=BB1_163 Depth=2
	s_or_b64 exec, exec, s[58:59]
	s_waitcnt vmcnt(0)
	v_readfirstlane_b32 s44, v28
	v_add_u32_e32 v46, s44, v11
	v_ashrrev_i32_e32 v47, 31, v46
	v_lshlrev_b64 v[48:49], 2, v[46:47]
	v_mov_b32_e32 v11, s64
	v_add_co_u32_e32 v48, vcc, s63, v48
	v_addc_co_u32_e32 v49, vcc, v11, v49, vcc
	s_andn2_b64 vcc, exec, s[6:7]
	global_store_dword v[48:49], v0, off
	s_cbranch_vccnz .LBB1_175
; %bb.174:                              ;   in Loop: Header=BB1_163 Depth=2
	v_ashrrev_i32_e32 v11, 31, v10
	v_lshlrev_b64 v[48:49], 2, v[10:11]
	v_mov_b32_e32 v0, s27
	v_add_co_u32_e32 v48, vcc, s26, v48
	v_addc_co_u32_e32 v49, vcc, v0, v49, vcc
	global_load_dword v11, v[48:49], off
	s_cbranch_execz .LBB1_176
	s_branch .LBB1_177
.LBB1_175:                              ;   in Loop: Header=BB1_163 Depth=2
                                        ; implicit-def: $vgpr11
.LBB1_176:                              ;   in Loop: Header=BB1_163 Depth=2
	s_waitcnt vmcnt(0)
	v_add_u32_e32 v11, s25, v10
.LBB1_177:                              ;   in Loop: Header=BB1_163 Depth=2
	s_or_b64 s[56:57], s[56:57], exec
	s_or_b64 exec, exec, s[54:55]
	s_and_saveexec_b64 s[54:55], s[56:57]
	s_cbranch_execnz .LBB1_184
	s_branch .LBB1_185
.LBB1_178:                              ;   in Loop: Header=BB1_163 Depth=2
                                        ; implicit-def: $vgpr11
.LBB1_179:                              ;   in Loop: Header=BB1_163 Depth=2
	s_waitcnt vmcnt(0)
	v_add_u32_e32 v11, s25, v10
.LBB1_180:                              ;   in Loop: Header=BB1_163 Depth=2
	s_mov_b64 s[60:61], exec
.LBB1_181:                              ;   in Loop: Header=BB1_163 Depth=2
	s_or_b64 exec, exec, s[58:59]
	s_and_b64 s[58:59], s[60:61], exec
.LBB1_182:                              ;   in Loop: Header=BB1_163 Depth=2
	s_or_b64 exec, exec, s[56:57]
	s_and_b64 s[56:57], s[58:59], exec
	s_andn2_saveexec_b64 s[54:55], s[54:55]
	s_cbranch_execnz .LBB1_171
.LBB1_183:                              ;   in Loop: Header=BB1_163 Depth=2
	s_or_b64 exec, exec, s[54:55]
	s_and_saveexec_b64 s[54:55], s[56:57]
	s_cbranch_execz .LBB1_185
.LBB1_184:                              ;   in Loop: Header=BB1_163 Depth=2
	v_lshlrev_b64 v[46:47], 2, v[46:47]
	v_mov_b32_e32 v0, s62
	v_add_co_u32_e32 v46, vcc, s33, v46
	v_addc_co_u32_e32 v47, vcc, v0, v47, vcc
	s_waitcnt vmcnt(0)
	global_store_dword v[46:47], v11, off
.LBB1_185:                              ;   in Loop: Header=BB1_163 Depth=2
	s_or_b64 exec, exec, s[54:55]
	v_cmp_gt_i32_e32 vcc, 0, v1
	s_waitcnt vmcnt(0)
	v_cndmask_b32_e64 v11, v61, 0, vcc
	v_xor_b32_e32 v28, v11, v1
	v_add_u32_e32 v0, 1, v10
	v_cmp_ge_u32_e32 vcc, v28, v40
	s_mov_b64 s[56:57], 0
                                        ; implicit-def: $vgpr11
                                        ; implicit-def: $vgpr46_vgpr47
	s_and_saveexec_b64 s[54:55], vcc
	s_xor_b64 s[54:55], exec, s[54:55]
	s_cbranch_execz .LBB1_192
; %bb.186:                              ;   in Loop: Header=BB1_163 Depth=2
	v_cmp_eq_u32_e32 vcc, v28, v40
	s_mov_b64 s[58:59], 0
                                        ; implicit-def: $vgpr11
                                        ; implicit-def: $vgpr46_vgpr47
	s_and_saveexec_b64 s[56:57], vcc
	s_cbranch_execz .LBB1_204
; %bb.187:                              ;   in Loop: Header=BB1_163 Depth=2
	s_mov_b64 s[60:61], exec
	v_mbcnt_lo_u32_b32 v11, s60, 0
	v_mbcnt_hi_u32_b32 v11, s61, v11
	v_cmp_eq_u32_e32 vcc, 0, v11
                                        ; implicit-def: $vgpr28
	s_and_saveexec_b64 s[58:59], vcc
	s_cbranch_execz .LBB1_189
; %bb.188:                              ;   in Loop: Header=BB1_163 Depth=2
	s_bcnt1_i32_b64 s44, s[60:61]
	v_mov_b32_e32 v28, s44
	global_atomic_add v28, v29, v28, s[28:29] offset:512 glc
.LBB1_189:                              ;   in Loop: Header=BB1_163 Depth=2
	s_or_b64 exec, exec, s[58:59]
	s_waitcnt vmcnt(0)
	v_readfirstlane_b32 s44, v28
	v_add_u32_e32 v28, s44, v11
	v_cmp_lt_i32_e32 vcc, v28, v41
	s_mov_b64 s[60:61], 0
                                        ; implicit-def: $vgpr11
                                        ; implicit-def: $vgpr46_vgpr47
	s_and_saveexec_b64 s[58:59], vcc
	s_cbranch_execz .LBB1_203
; %bb.190:                              ;   in Loop: Header=BB1_163 Depth=2
	v_xad_u32 v46, v28, -1, s73
	v_ashrrev_i32_e32 v47, 31, v46
	v_lshlrev_b64 v[48:49], 2, v[46:47]
	v_mov_b32_e32 v11, s64
	v_add_co_u32_e32 v48, vcc, s63, v48
	v_addc_co_u32_e32 v49, vcc, v11, v49, vcc
	s_andn2_b64 vcc, exec, s[6:7]
	global_store_dword v[48:49], v1, off
	s_cbranch_vccnz .LBB1_200
; %bb.191:                              ;   in Loop: Header=BB1_163 Depth=2
	v_ashrrev_i32_e32 v11, 31, v10
	v_lshlrev_b64 v[48:49], 2, v[10:11]
	v_mov_b32_e32 v11, s37
	v_add_co_u32_e32 v48, vcc, s31, v48
	v_addc_co_u32_e32 v49, vcc, v11, v49, vcc
	global_load_dword v11, v[48:49], off
	s_andn2_b64 vcc, exec, s[60:61]
	s_cbranch_vccz .LBB1_201
	s_branch .LBB1_202
.LBB1_192:                              ;   in Loop: Header=BB1_163 Depth=2
	s_andn2_saveexec_b64 s[54:55], s[54:55]
	s_cbranch_execz .LBB1_205
.LBB1_193:                              ;   in Loop: Header=BB1_163 Depth=2
	s_mov_b64 s[60:61], exec
	s_waitcnt vmcnt(0)
	v_mbcnt_lo_u32_b32 v11, s60, 0
	v_mbcnt_hi_u32_b32 v11, s61, v11
	v_cmp_eq_u32_e32 vcc, 0, v11
                                        ; implicit-def: $vgpr28
	s_and_saveexec_b64 s[58:59], vcc
	s_cbranch_execz .LBB1_195
; %bb.194:                              ;   in Loop: Header=BB1_163 Depth=2
	s_bcnt1_i32_b64 s44, s[60:61]
	v_mov_b32_e32 v28, s44
	global_atomic_add v28, v29, v28, s[28:29] offset:384 glc
.LBB1_195:                              ;   in Loop: Header=BB1_163 Depth=2
	s_or_b64 exec, exec, s[58:59]
	s_waitcnt vmcnt(0)
	v_readfirstlane_b32 s44, v28
	v_add_u32_e32 v46, s44, v11
	v_ashrrev_i32_e32 v47, 31, v46
	v_lshlrev_b64 v[48:49], 2, v[46:47]
	v_mov_b32_e32 v11, s64
	v_add_co_u32_e32 v48, vcc, s63, v48
	v_addc_co_u32_e32 v49, vcc, v11, v49, vcc
	s_andn2_b64 vcc, exec, s[6:7]
	global_store_dword v[48:49], v1, off
	s_cbranch_vccnz .LBB1_197
; %bb.196:                              ;   in Loop: Header=BB1_163 Depth=2
	v_ashrrev_i32_e32 v11, 31, v10
	v_lshlrev_b64 v[48:49], 2, v[10:11]
	v_mov_b32_e32 v1, s37
	v_add_co_u32_e32 v48, vcc, s31, v48
	v_addc_co_u32_e32 v49, vcc, v1, v49, vcc
	global_load_dword v11, v[48:49], off
	s_cbranch_execz .LBB1_198
	s_branch .LBB1_199
.LBB1_197:                              ;   in Loop: Header=BB1_163 Depth=2
                                        ; implicit-def: $vgpr11
.LBB1_198:                              ;   in Loop: Header=BB1_163 Depth=2
	s_waitcnt vmcnt(0)
	v_add_u32_e32 v11, s25, v0
.LBB1_199:                              ;   in Loop: Header=BB1_163 Depth=2
	s_or_b64 s[56:57], s[56:57], exec
	s_or_b64 exec, exec, s[54:55]
	s_and_saveexec_b64 s[54:55], s[56:57]
	s_cbranch_execnz .LBB1_206
	s_branch .LBB1_207
.LBB1_200:                              ;   in Loop: Header=BB1_163 Depth=2
                                        ; implicit-def: $vgpr11
.LBB1_201:                              ;   in Loop: Header=BB1_163 Depth=2
	s_waitcnt vmcnt(0)
	v_add_u32_e32 v11, s25, v0
.LBB1_202:                              ;   in Loop: Header=BB1_163 Depth=2
	s_mov_b64 s[60:61], exec
.LBB1_203:                              ;   in Loop: Header=BB1_163 Depth=2
	s_or_b64 exec, exec, s[58:59]
	s_and_b64 s[58:59], s[60:61], exec
.LBB1_204:                              ;   in Loop: Header=BB1_163 Depth=2
	s_or_b64 exec, exec, s[56:57]
	s_and_b64 s[56:57], s[58:59], exec
                                        ; implicit-def: $vgpr0
	s_andn2_saveexec_b64 s[54:55], s[54:55]
	s_cbranch_execnz .LBB1_193
.LBB1_205:                              ;   in Loop: Header=BB1_163 Depth=2
	s_or_b64 exec, exec, s[54:55]
	s_and_saveexec_b64 s[54:55], s[56:57]
	s_cbranch_execz .LBB1_207
.LBB1_206:                              ;   in Loop: Header=BB1_163 Depth=2
	v_lshlrev_b64 v[0:1], 2, v[46:47]
	v_mov_b32_e32 v28, s62
	v_add_co_u32_e32 v0, vcc, s33, v0
	v_addc_co_u32_e32 v1, vcc, v28, v1, vcc
	s_waitcnt vmcnt(0)
	global_store_dword v[0:1], v11, off
.LBB1_207:                              ;   in Loop: Header=BB1_163 Depth=2
	s_or_b64 exec, exec, s[54:55]
	v_cmp_gt_i32_e32 vcc, 0, v2
	v_cndmask_b32_e64 v0, v61, 0, vcc
	v_xor_b32_e32 v37, v0, v2
	v_add_u32_e32 v28, 2, v10
	v_cmp_ge_u32_e32 vcc, v37, v40
	s_mov_b64 s[56:57], 0
                                        ; implicit-def: $vgpr11
                                        ; implicit-def: $vgpr0_vgpr1
	s_and_saveexec_b64 s[54:55], vcc
	s_xor_b64 s[54:55], exec, s[54:55]
	s_cbranch_execz .LBB1_214
; %bb.208:                              ;   in Loop: Header=BB1_163 Depth=2
	v_cmp_eq_u32_e32 vcc, v37, v40
	s_mov_b64 s[58:59], 0
                                        ; implicit-def: $vgpr11
                                        ; implicit-def: $vgpr0_vgpr1
	s_and_saveexec_b64 s[56:57], vcc
	s_cbranch_execz .LBB1_226
; %bb.209:                              ;   in Loop: Header=BB1_163 Depth=2
	s_mov_b64 s[60:61], exec
	v_mbcnt_lo_u32_b32 v0, s60, 0
	v_mbcnt_hi_u32_b32 v0, s61, v0
	v_cmp_eq_u32_e32 vcc, 0, v0
                                        ; implicit-def: $vgpr1
	s_and_saveexec_b64 s[58:59], vcc
	s_cbranch_execz .LBB1_211
; %bb.210:                              ;   in Loop: Header=BB1_163 Depth=2
	s_bcnt1_i32_b64 s44, s[60:61]
	v_mov_b32_e32 v1, s44
	global_atomic_add v1, v29, v1, s[28:29] offset:512 glc
.LBB1_211:                              ;   in Loop: Header=BB1_163 Depth=2
	s_or_b64 exec, exec, s[58:59]
	s_waitcnt vmcnt(0)
	v_readfirstlane_b32 s44, v1
	v_add_u32_e32 v37, s44, v0
	v_cmp_lt_i32_e32 vcc, v37, v41
	s_mov_b64 s[60:61], 0
                                        ; implicit-def: $vgpr11
                                        ; implicit-def: $vgpr0_vgpr1
	s_and_saveexec_b64 s[58:59], vcc
	s_cbranch_execz .LBB1_225
; %bb.212:                              ;   in Loop: Header=BB1_163 Depth=2
	v_xad_u32 v0, v37, -1, s73
	v_ashrrev_i32_e32 v1, 31, v0
	v_lshlrev_b64 v[46:47], 2, v[0:1]
	v_mov_b32_e32 v11, s64
	v_add_co_u32_e32 v46, vcc, s63, v46
	v_addc_co_u32_e32 v47, vcc, v11, v47, vcc
	s_andn2_b64 vcc, exec, s[6:7]
	global_store_dword v[46:47], v2, off
	s_cbranch_vccnz .LBB1_222
; %bb.213:                              ;   in Loop: Header=BB1_163 Depth=2
	v_ashrrev_i32_e32 v11, 31, v10
	v_lshlrev_b64 v[46:47], 2, v[10:11]
	v_mov_b32_e32 v11, s67
	v_add_co_u32_e32 v46, vcc, s66, v46
	v_addc_co_u32_e32 v47, vcc, v11, v47, vcc
	global_load_dword v11, v[46:47], off
	s_andn2_b64 vcc, exec, s[60:61]
	s_cbranch_vccz .LBB1_223
	s_branch .LBB1_224
.LBB1_214:                              ;   in Loop: Header=BB1_163 Depth=2
	s_andn2_saveexec_b64 s[54:55], s[54:55]
	s_cbranch_execz .LBB1_227
.LBB1_215:                              ;   in Loop: Header=BB1_163 Depth=2
	s_mov_b64 s[60:61], exec
	v_mbcnt_lo_u32_b32 v0, s60, 0
	v_mbcnt_hi_u32_b32 v0, s61, v0
	v_cmp_eq_u32_e32 vcc, 0, v0
                                        ; implicit-def: $vgpr1
	s_and_saveexec_b64 s[58:59], vcc
	s_cbranch_execz .LBB1_217
; %bb.216:                              ;   in Loop: Header=BB1_163 Depth=2
	s_bcnt1_i32_b64 s44, s[60:61]
	v_mov_b32_e32 v1, s44
	global_atomic_add v1, v29, v1, s[28:29] offset:384 glc
.LBB1_217:                              ;   in Loop: Header=BB1_163 Depth=2
	s_or_b64 exec, exec, s[58:59]
	s_waitcnt vmcnt(0)
	v_readfirstlane_b32 s44, v1
	v_add_u32_e32 v0, s44, v0
	v_ashrrev_i32_e32 v1, 31, v0
	v_lshlrev_b64 v[46:47], 2, v[0:1]
	v_mov_b32_e32 v11, s64
	v_add_co_u32_e32 v46, vcc, s63, v46
	v_addc_co_u32_e32 v47, vcc, v11, v47, vcc
	s_andn2_b64 vcc, exec, s[6:7]
	global_store_dword v[46:47], v2, off
	s_cbranch_vccnz .LBB1_219
; %bb.218:                              ;   in Loop: Header=BB1_163 Depth=2
	v_ashrrev_i32_e32 v11, 31, v10
	v_lshlrev_b64 v[46:47], 2, v[10:11]
	v_mov_b32_e32 v2, s67
	v_add_co_u32_e32 v46, vcc, s66, v46
	v_addc_co_u32_e32 v47, vcc, v2, v47, vcc
	global_load_dword v11, v[46:47], off
	s_cbranch_execz .LBB1_220
	s_branch .LBB1_221
.LBB1_219:                              ;   in Loop: Header=BB1_163 Depth=2
                                        ; implicit-def: $vgpr11
.LBB1_220:                              ;   in Loop: Header=BB1_163 Depth=2
	s_waitcnt vmcnt(0)
	v_add_u32_e32 v11, s25, v28
.LBB1_221:                              ;   in Loop: Header=BB1_163 Depth=2
	s_or_b64 s[56:57], s[56:57], exec
	s_or_b64 exec, exec, s[54:55]
	s_and_saveexec_b64 s[54:55], s[56:57]
	s_cbranch_execnz .LBB1_228
	s_branch .LBB1_229
.LBB1_222:                              ;   in Loop: Header=BB1_163 Depth=2
                                        ; implicit-def: $vgpr11
.LBB1_223:                              ;   in Loop: Header=BB1_163 Depth=2
	s_waitcnt vmcnt(0)
	v_add_u32_e32 v11, s25, v28
.LBB1_224:                              ;   in Loop: Header=BB1_163 Depth=2
	s_mov_b64 s[60:61], exec
.LBB1_225:                              ;   in Loop: Header=BB1_163 Depth=2
	s_or_b64 exec, exec, s[58:59]
	s_and_b64 s[58:59], s[60:61], exec
.LBB1_226:                              ;   in Loop: Header=BB1_163 Depth=2
	s_or_b64 exec, exec, s[56:57]
	s_and_b64 s[56:57], s[58:59], exec
                                        ; implicit-def: $vgpr28
	s_andn2_saveexec_b64 s[54:55], s[54:55]
	s_cbranch_execnz .LBB1_215
.LBB1_227:                              ;   in Loop: Header=BB1_163 Depth=2
	s_or_b64 exec, exec, s[54:55]
	s_and_saveexec_b64 s[54:55], s[56:57]
	s_cbranch_execz .LBB1_229
.LBB1_228:                              ;   in Loop: Header=BB1_163 Depth=2
	v_lshlrev_b64 v[0:1], 2, v[0:1]
	v_mov_b32_e32 v2, s62
	v_add_co_u32_e32 v0, vcc, s33, v0
	v_addc_co_u32_e32 v1, vcc, v2, v1, vcc
	s_waitcnt vmcnt(0)
	global_store_dword v[0:1], v11, off
.LBB1_229:                              ;   in Loop: Header=BB1_163 Depth=2
	s_or_b64 exec, exec, s[54:55]
	v_cmp_gt_i32_e32 vcc, 0, v3
	v_cndmask_b32_e64 v0, v61, 0, vcc
	v_xor_b32_e32 v0, v0, v3
	v_add_u32_e32 v28, 3, v10
	v_cmp_ge_u32_e32 vcc, v0, v40
	s_mov_b64 s[56:57], 0
                                        ; implicit-def: $vgpr11
                                        ; implicit-def: $vgpr46_vgpr47
	s_and_saveexec_b64 s[54:55], vcc
	s_xor_b64 s[54:55], exec, s[54:55]
	s_cbranch_execz .LBB1_236
; %bb.230:                              ;   in Loop: Header=BB1_163 Depth=2
	v_cmp_eq_u32_e32 vcc, v0, v40
	s_mov_b64 s[58:59], 0
                                        ; implicit-def: $vgpr11
                                        ; implicit-def: $vgpr46_vgpr47
	s_and_saveexec_b64 s[56:57], vcc
	s_cbranch_execz .LBB1_248
; %bb.231:                              ;   in Loop: Header=BB1_163 Depth=2
	s_mov_b64 s[60:61], exec
	v_mbcnt_lo_u32_b32 v0, s60, 0
	v_mbcnt_hi_u32_b32 v0, s61, v0
	v_cmp_eq_u32_e32 vcc, 0, v0
                                        ; implicit-def: $vgpr1
	s_and_saveexec_b64 s[58:59], vcc
	s_cbranch_execz .LBB1_233
; %bb.232:                              ;   in Loop: Header=BB1_163 Depth=2
	s_bcnt1_i32_b64 s44, s[60:61]
	v_mov_b32_e32 v1, s44
	global_atomic_add v1, v29, v1, s[28:29] offset:512 glc
.LBB1_233:                              ;   in Loop: Header=BB1_163 Depth=2
	s_or_b64 exec, exec, s[58:59]
	s_waitcnt vmcnt(0)
	v_readfirstlane_b32 s44, v1
	v_add_u32_e32 v0, s44, v0
	v_cmp_lt_i32_e32 vcc, v0, v41
	s_mov_b64 s[60:61], 0
                                        ; implicit-def: $vgpr11
                                        ; implicit-def: $vgpr46_vgpr47
	s_and_saveexec_b64 s[58:59], vcc
	s_cbranch_execz .LBB1_247
; %bb.234:                              ;   in Loop: Header=BB1_163 Depth=2
	v_xad_u32 v46, v0, -1, s73
	v_ashrrev_i32_e32 v47, 31, v46
	v_lshlrev_b64 v[0:1], 2, v[46:47]
	v_mov_b32_e32 v2, s64
	v_add_co_u32_e32 v0, vcc, s63, v0
	v_addc_co_u32_e32 v1, vcc, v2, v1, vcc
	s_andn2_b64 vcc, exec, s[6:7]
	global_store_dword v[0:1], v3, off
	s_cbranch_vccnz .LBB1_244
; %bb.235:                              ;   in Loop: Header=BB1_163 Depth=2
	v_ashrrev_i32_e32 v11, 31, v10
	v_lshlrev_b64 v[0:1], 2, v[10:11]
	v_mov_b32_e32 v2, s69
	v_add_co_u32_e32 v0, vcc, s68, v0
	v_addc_co_u32_e32 v1, vcc, v2, v1, vcc
	global_load_dword v11, v[0:1], off
	s_andn2_b64 vcc, exec, s[60:61]
	s_cbranch_vccz .LBB1_245
	s_branch .LBB1_246
.LBB1_236:                              ;   in Loop: Header=BB1_163 Depth=2
	s_andn2_saveexec_b64 s[54:55], s[54:55]
	s_cbranch_execz .LBB1_249
.LBB1_237:                              ;   in Loop: Header=BB1_163 Depth=2
	s_mov_b64 s[60:61], exec
	v_mbcnt_lo_u32_b32 v0, s60, 0
	v_mbcnt_hi_u32_b32 v0, s61, v0
	v_cmp_eq_u32_e32 vcc, 0, v0
                                        ; implicit-def: $vgpr1
	s_and_saveexec_b64 s[58:59], vcc
	s_cbranch_execz .LBB1_239
; %bb.238:                              ;   in Loop: Header=BB1_163 Depth=2
	s_bcnt1_i32_b64 s44, s[60:61]
	v_mov_b32_e32 v1, s44
	global_atomic_add v1, v29, v1, s[28:29] offset:384 glc
.LBB1_239:                              ;   in Loop: Header=BB1_163 Depth=2
	s_or_b64 exec, exec, s[58:59]
	s_waitcnt vmcnt(0)
	v_readfirstlane_b32 s44, v1
	v_add_u32_e32 v46, s44, v0
	v_ashrrev_i32_e32 v47, 31, v46
	v_lshlrev_b64 v[0:1], 2, v[46:47]
	v_mov_b32_e32 v2, s64
	v_add_co_u32_e32 v0, vcc, s63, v0
	v_addc_co_u32_e32 v1, vcc, v2, v1, vcc
	s_andn2_b64 vcc, exec, s[6:7]
	global_store_dword v[0:1], v3, off
	s_cbranch_vccnz .LBB1_241
; %bb.240:                              ;   in Loop: Header=BB1_163 Depth=2
	v_ashrrev_i32_e32 v11, 31, v10
	v_lshlrev_b64 v[0:1], 2, v[10:11]
	v_mov_b32_e32 v2, s69
	v_add_co_u32_e32 v0, vcc, s68, v0
	v_addc_co_u32_e32 v1, vcc, v2, v1, vcc
	global_load_dword v11, v[0:1], off
	s_cbranch_execz .LBB1_242
	s_branch .LBB1_243
.LBB1_241:                              ;   in Loop: Header=BB1_163 Depth=2
                                        ; implicit-def: $vgpr11
.LBB1_242:                              ;   in Loop: Header=BB1_163 Depth=2
	s_waitcnt vmcnt(0)
	v_add_u32_e32 v11, s25, v28
.LBB1_243:                              ;   in Loop: Header=BB1_163 Depth=2
	s_or_b64 s[56:57], s[56:57], exec
	s_or_b64 exec, exec, s[54:55]
	s_and_saveexec_b64 s[54:55], s[56:57]
	s_cbranch_execnz .LBB1_250
	s_branch .LBB1_251
.LBB1_244:                              ;   in Loop: Header=BB1_163 Depth=2
                                        ; implicit-def: $vgpr11
.LBB1_245:                              ;   in Loop: Header=BB1_163 Depth=2
	s_waitcnt vmcnt(0)
	v_add_u32_e32 v11, s25, v28
.LBB1_246:                              ;   in Loop: Header=BB1_163 Depth=2
	s_mov_b64 s[60:61], exec
.LBB1_247:                              ;   in Loop: Header=BB1_163 Depth=2
	s_or_b64 exec, exec, s[58:59]
	s_and_b64 s[58:59], s[60:61], exec
.LBB1_248:                              ;   in Loop: Header=BB1_163 Depth=2
	s_or_b64 exec, exec, s[56:57]
	s_and_b64 s[56:57], s[58:59], exec
                                        ; implicit-def: $vgpr28
                                        ; implicit-def: $vgpr10
                                        ; implicit-def: $vgpr0_vgpr1_vgpr2_vgpr3
	s_andn2_saveexec_b64 s[54:55], s[54:55]
	s_cbranch_execnz .LBB1_237
.LBB1_249:                              ;   in Loop: Header=BB1_163 Depth=2
	s_or_b64 exec, exec, s[54:55]
	s_and_saveexec_b64 s[54:55], s[56:57]
	s_cbranch_execz .LBB1_251
.LBB1_250:                              ;   in Loop: Header=BB1_163 Depth=2
	v_lshlrev_b64 v[0:1], 2, v[46:47]
	v_mov_b32_e32 v2, s62
	v_add_co_u32_e32 v0, vcc, s33, v0
	v_addc_co_u32_e32 v1, vcc, v2, v1, vcc
	s_waitcnt vmcnt(0)
	global_store_dword v[0:1], v11, off
.LBB1_251:                              ;   in Loop: Header=BB1_163 Depth=2
	s_or_b64 exec, exec, s[54:55]
	v_mov_b32_e32 v1, s39
	v_add_co_u32_e32 v0, vcc, s38, v8
	v_addc_co_u32_e32 v1, vcc, v9, v1, vcc
	v_lshlrev_b64 v[2:3], 4, v[44:45]
	v_mov_b32_e32 v8, s70
	v_add_co_u32_e32 v2, vcc, s24, v2
	v_addc_co_u32_e32 v3, vcc, v8, v3, vcc
	global_load_dwordx4 v[8:11], v[0:1], off
	s_nop 0
	global_load_dwordx4 v[0:3], v[2:3], off
	v_add_co_u32_e32 v28, vcc, s30, v42
	v_cmp_gt_i32_e32 vcc, 0, v4
	v_cndmask_b32_e64 v37, v61, 0, vcc
	v_xor_b32_e32 v43, v37, v4
	v_lshl_add_u32 v46, v28, 2, s36
	v_cmp_ge_u32_e32 vcc, v43, v40
	s_mov_b64 s[56:57], 0
                                        ; implicit-def: $vgpr37
                                        ; implicit-def: $vgpr48_vgpr49
	s_and_saveexec_b64 s[54:55], vcc
	s_xor_b64 s[54:55], exec, s[54:55]
	s_cbranch_execz .LBB1_258
; %bb.252:                              ;   in Loop: Header=BB1_163 Depth=2
	v_cmp_eq_u32_e32 vcc, v43, v40
	s_mov_b64 s[58:59], 0
                                        ; implicit-def: $vgpr37
                                        ; implicit-def: $vgpr48_vgpr49
	s_and_saveexec_b64 s[56:57], vcc
	s_cbranch_execz .LBB1_270
; %bb.253:                              ;   in Loop: Header=BB1_163 Depth=2
	s_mov_b64 s[60:61], exec
	v_mbcnt_lo_u32_b32 v37, s60, 0
	v_mbcnt_hi_u32_b32 v37, s61, v37
	v_cmp_eq_u32_e32 vcc, 0, v37
                                        ; implicit-def: $vgpr43
	s_and_saveexec_b64 s[58:59], vcc
	s_cbranch_execz .LBB1_255
; %bb.254:                              ;   in Loop: Header=BB1_163 Depth=2
	s_bcnt1_i32_b64 s44, s[60:61]
	v_mov_b32_e32 v43, s44
	global_atomic_add v43, v29, v43, s[28:29] offset:512 glc
.LBB1_255:                              ;   in Loop: Header=BB1_163 Depth=2
	s_or_b64 exec, exec, s[58:59]
	s_waitcnt vmcnt(0)
	v_readfirstlane_b32 s44, v43
	v_add_u32_e32 v43, s44, v37
	v_cmp_lt_i32_e32 vcc, v43, v41
	s_mov_b64 s[60:61], 0
                                        ; implicit-def: $vgpr37
                                        ; implicit-def: $vgpr48_vgpr49
	s_and_saveexec_b64 s[58:59], vcc
	s_xor_b64 s[58:59], exec, s[58:59]
	s_cbranch_execz .LBB1_269
; %bb.256:                              ;   in Loop: Header=BB1_163 Depth=2
	v_xad_u32 v48, v43, -1, s73
	v_ashrrev_i32_e32 v49, 31, v48
	v_lshlrev_b64 v[64:65], 2, v[48:49]
	v_mov_b32_e32 v37, s64
	v_add_co_u32_e32 v64, vcc, s63, v64
	v_addc_co_u32_e32 v65, vcc, v37, v65, vcc
	s_andn2_b64 vcc, exec, s[6:7]
	global_store_dword v[64:65], v4, off
	s_cbranch_vccnz .LBB1_266
; %bb.257:                              ;   in Loop: Header=BB1_163 Depth=2
	v_ashrrev_i32_e32 v47, 31, v46
	v_lshlrev_b64 v[64:65], 2, v[46:47]
	v_mov_b32_e32 v37, s27
	v_add_co_u32_e32 v64, vcc, s26, v64
	v_addc_co_u32_e32 v65, vcc, v37, v65, vcc
	global_load_dword v37, v[64:65], off
	s_andn2_b64 vcc, exec, s[60:61]
	s_cbranch_vccz .LBB1_267
	s_branch .LBB1_268
.LBB1_258:                              ;   in Loop: Header=BB1_163 Depth=2
	s_andn2_saveexec_b64 s[54:55], s[54:55]
	s_cbranch_execz .LBB1_271
.LBB1_259:                              ;   in Loop: Header=BB1_163 Depth=2
	s_mov_b64 s[60:61], exec
	s_waitcnt vmcnt(0)
	v_mbcnt_lo_u32_b32 v37, s60, 0
	v_mbcnt_hi_u32_b32 v37, s61, v37
	v_cmp_eq_u32_e32 vcc, 0, v37
                                        ; implicit-def: $vgpr43
	s_and_saveexec_b64 s[58:59], vcc
	s_cbranch_execz .LBB1_261
; %bb.260:                              ;   in Loop: Header=BB1_163 Depth=2
	s_bcnt1_i32_b64 s44, s[60:61]
	v_mov_b32_e32 v43, s44
	global_atomic_add v43, v29, v43, s[28:29] offset:384 glc
.LBB1_261:                              ;   in Loop: Header=BB1_163 Depth=2
	s_or_b64 exec, exec, s[58:59]
	s_waitcnt vmcnt(0)
	v_readfirstlane_b32 s44, v43
	v_add_u32_e32 v48, s44, v37
	v_ashrrev_i32_e32 v49, 31, v48
	v_lshlrev_b64 v[64:65], 2, v[48:49]
	v_mov_b32_e32 v37, s64
	v_add_co_u32_e32 v64, vcc, s63, v64
	v_addc_co_u32_e32 v65, vcc, v37, v65, vcc
	s_andn2_b64 vcc, exec, s[6:7]
	global_store_dword v[64:65], v4, off
	s_cbranch_vccnz .LBB1_263
; %bb.262:                              ;   in Loop: Header=BB1_163 Depth=2
	v_ashrrev_i32_e32 v47, 31, v46
	v_lshlrev_b64 v[64:65], 2, v[46:47]
	v_mov_b32_e32 v4, s27
	v_add_co_u32_e32 v64, vcc, s26, v64
	v_addc_co_u32_e32 v65, vcc, v4, v65, vcc
	global_load_dword v37, v[64:65], off
	s_cbranch_execz .LBB1_264
	s_branch .LBB1_265
.LBB1_263:                              ;   in Loop: Header=BB1_163 Depth=2
                                        ; implicit-def: $vgpr37
.LBB1_264:                              ;   in Loop: Header=BB1_163 Depth=2
	s_waitcnt vmcnt(0)
	v_add_u32_e32 v37, s25, v46
.LBB1_265:                              ;   in Loop: Header=BB1_163 Depth=2
	s_or_b64 s[56:57], s[56:57], exec
	s_or_b64 exec, exec, s[54:55]
	s_and_saveexec_b64 s[54:55], s[56:57]
	s_cbranch_execnz .LBB1_272
	s_branch .LBB1_273
.LBB1_266:                              ;   in Loop: Header=BB1_163 Depth=2
                                        ; implicit-def: $vgpr37
.LBB1_267:                              ;   in Loop: Header=BB1_163 Depth=2
	s_waitcnt vmcnt(0)
	v_add_u32_e32 v37, s25, v46
.LBB1_268:                              ;   in Loop: Header=BB1_163 Depth=2
	s_mov_b64 s[60:61], exec
.LBB1_269:                              ;   in Loop: Header=BB1_163 Depth=2
	s_or_b64 exec, exec, s[58:59]
	s_and_b64 s[58:59], s[60:61], exec
.LBB1_270:                              ;   in Loop: Header=BB1_163 Depth=2
	s_or_b64 exec, exec, s[56:57]
	s_and_b64 s[56:57], s[58:59], exec
	s_andn2_saveexec_b64 s[54:55], s[54:55]
	s_cbranch_execnz .LBB1_259
.LBB1_271:                              ;   in Loop: Header=BB1_163 Depth=2
	s_or_b64 exec, exec, s[54:55]
	s_and_saveexec_b64 s[54:55], s[56:57]
	s_cbranch_execz .LBB1_273
.LBB1_272:                              ;   in Loop: Header=BB1_163 Depth=2
	v_lshlrev_b64 v[48:49], 2, v[48:49]
	v_mov_b32_e32 v4, s62
	v_add_co_u32_e32 v48, vcc, s33, v48
	v_addc_co_u32_e32 v49, vcc, v4, v49, vcc
	s_waitcnt vmcnt(0)
	global_store_dword v[48:49], v37, off
.LBB1_273:                              ;   in Loop: Header=BB1_163 Depth=2
	s_or_b64 exec, exec, s[54:55]
	v_cmp_gt_i32_e32 vcc, 0, v5
	s_waitcnt vmcnt(0)
	v_cndmask_b32_e64 v37, v61, 0, vcc
	v_xor_b32_e32 v43, v37, v5
	v_add_u32_e32 v4, 1, v46
	v_cmp_ge_u32_e32 vcc, v43, v40
	s_mov_b64 s[56:57], 0
                                        ; implicit-def: $vgpr37
                                        ; implicit-def: $vgpr48_vgpr49
	s_and_saveexec_b64 s[54:55], vcc
	s_xor_b64 s[54:55], exec, s[54:55]
	s_cbranch_execz .LBB1_280
; %bb.274:                              ;   in Loop: Header=BB1_163 Depth=2
	v_cmp_eq_u32_e32 vcc, v43, v40
	s_mov_b64 s[58:59], 0
                                        ; implicit-def: $vgpr37
                                        ; implicit-def: $vgpr48_vgpr49
	s_and_saveexec_b64 s[56:57], vcc
	s_cbranch_execz .LBB1_292
; %bb.275:                              ;   in Loop: Header=BB1_163 Depth=2
	s_mov_b64 s[60:61], exec
	v_mbcnt_lo_u32_b32 v37, s60, 0
	v_mbcnt_hi_u32_b32 v37, s61, v37
	v_cmp_eq_u32_e32 vcc, 0, v37
                                        ; implicit-def: $vgpr43
	s_and_saveexec_b64 s[58:59], vcc
	s_cbranch_execz .LBB1_277
; %bb.276:                              ;   in Loop: Header=BB1_163 Depth=2
	s_bcnt1_i32_b64 s44, s[60:61]
	v_mov_b32_e32 v43, s44
	global_atomic_add v43, v29, v43, s[28:29] offset:512 glc
.LBB1_277:                              ;   in Loop: Header=BB1_163 Depth=2
	s_or_b64 exec, exec, s[58:59]
	s_waitcnt vmcnt(0)
	v_readfirstlane_b32 s44, v43
	v_add_u32_e32 v43, s44, v37
	v_cmp_lt_i32_e32 vcc, v43, v41
	s_mov_b64 s[60:61], 0
                                        ; implicit-def: $vgpr37
                                        ; implicit-def: $vgpr48_vgpr49
	s_and_saveexec_b64 s[58:59], vcc
	s_cbranch_execz .LBB1_291
; %bb.278:                              ;   in Loop: Header=BB1_163 Depth=2
	v_xad_u32 v48, v43, -1, s73
	v_ashrrev_i32_e32 v49, 31, v48
	v_lshlrev_b64 v[64:65], 2, v[48:49]
	v_mov_b32_e32 v37, s64
	v_add_co_u32_e32 v64, vcc, s63, v64
	v_addc_co_u32_e32 v65, vcc, v37, v65, vcc
	s_andn2_b64 vcc, exec, s[6:7]
	global_store_dword v[64:65], v5, off
	s_cbranch_vccnz .LBB1_288
; %bb.279:                              ;   in Loop: Header=BB1_163 Depth=2
	v_ashrrev_i32_e32 v47, 31, v46
	v_lshlrev_b64 v[64:65], 2, v[46:47]
	v_mov_b32_e32 v37, s37
	v_add_co_u32_e32 v64, vcc, s31, v64
	v_addc_co_u32_e32 v65, vcc, v37, v65, vcc
	global_load_dword v37, v[64:65], off
	s_andn2_b64 vcc, exec, s[60:61]
	s_cbranch_vccz .LBB1_289
	s_branch .LBB1_290
.LBB1_280:                              ;   in Loop: Header=BB1_163 Depth=2
	s_andn2_saveexec_b64 s[54:55], s[54:55]
	s_cbranch_execz .LBB1_293
.LBB1_281:                              ;   in Loop: Header=BB1_163 Depth=2
	s_mov_b64 s[60:61], exec
	s_waitcnt vmcnt(0)
	v_mbcnt_lo_u32_b32 v37, s60, 0
	v_mbcnt_hi_u32_b32 v37, s61, v37
	v_cmp_eq_u32_e32 vcc, 0, v37
                                        ; implicit-def: $vgpr43
	s_and_saveexec_b64 s[58:59], vcc
	s_cbranch_execz .LBB1_283
; %bb.282:                              ;   in Loop: Header=BB1_163 Depth=2
	s_bcnt1_i32_b64 s44, s[60:61]
	v_mov_b32_e32 v43, s44
	global_atomic_add v43, v29, v43, s[28:29] offset:384 glc
.LBB1_283:                              ;   in Loop: Header=BB1_163 Depth=2
	s_or_b64 exec, exec, s[58:59]
	s_waitcnt vmcnt(0)
	v_readfirstlane_b32 s44, v43
	v_add_u32_e32 v48, s44, v37
	v_ashrrev_i32_e32 v49, 31, v48
	v_lshlrev_b64 v[64:65], 2, v[48:49]
	v_mov_b32_e32 v37, s64
	v_add_co_u32_e32 v64, vcc, s63, v64
	v_addc_co_u32_e32 v65, vcc, v37, v65, vcc
	s_andn2_b64 vcc, exec, s[6:7]
	global_store_dword v[64:65], v5, off
	s_cbranch_vccnz .LBB1_285
; %bb.284:                              ;   in Loop: Header=BB1_163 Depth=2
	v_ashrrev_i32_e32 v47, 31, v46
	v_lshlrev_b64 v[64:65], 2, v[46:47]
	v_mov_b32_e32 v5, s37
	v_add_co_u32_e32 v64, vcc, s31, v64
	v_addc_co_u32_e32 v65, vcc, v5, v65, vcc
	global_load_dword v37, v[64:65], off
	s_cbranch_execz .LBB1_286
	s_branch .LBB1_287
.LBB1_285:                              ;   in Loop: Header=BB1_163 Depth=2
                                        ; implicit-def: $vgpr37
.LBB1_286:                              ;   in Loop: Header=BB1_163 Depth=2
	s_waitcnt vmcnt(0)
	v_add_u32_e32 v37, s25, v4
.LBB1_287:                              ;   in Loop: Header=BB1_163 Depth=2
	s_or_b64 s[56:57], s[56:57], exec
	s_or_b64 exec, exec, s[54:55]
	s_and_saveexec_b64 s[54:55], s[56:57]
	s_cbranch_execnz .LBB1_294
	s_branch .LBB1_295
.LBB1_288:                              ;   in Loop: Header=BB1_163 Depth=2
                                        ; implicit-def: $vgpr37
.LBB1_289:                              ;   in Loop: Header=BB1_163 Depth=2
	s_waitcnt vmcnt(0)
	v_add_u32_e32 v37, s25, v4
.LBB1_290:                              ;   in Loop: Header=BB1_163 Depth=2
	s_mov_b64 s[60:61], exec
.LBB1_291:                              ;   in Loop: Header=BB1_163 Depth=2
	s_or_b64 exec, exec, s[58:59]
	s_and_b64 s[58:59], s[60:61], exec
.LBB1_292:                              ;   in Loop: Header=BB1_163 Depth=2
	s_or_b64 exec, exec, s[56:57]
	s_and_b64 s[56:57], s[58:59], exec
                                        ; implicit-def: $vgpr4
	s_andn2_saveexec_b64 s[54:55], s[54:55]
	s_cbranch_execnz .LBB1_281
.LBB1_293:                              ;   in Loop: Header=BB1_163 Depth=2
	s_or_b64 exec, exec, s[54:55]
	s_and_saveexec_b64 s[54:55], s[56:57]
	s_cbranch_execz .LBB1_295
.LBB1_294:                              ;   in Loop: Header=BB1_163 Depth=2
	v_lshlrev_b64 v[4:5], 2, v[48:49]
	v_mov_b32_e32 v43, s62
	v_add_co_u32_e32 v4, vcc, s33, v4
	v_addc_co_u32_e32 v5, vcc, v43, v5, vcc
	s_waitcnt vmcnt(0)
	global_store_dword v[4:5], v37, off
.LBB1_295:                              ;   in Loop: Header=BB1_163 Depth=2
	s_or_b64 exec, exec, s[54:55]
	v_cmp_gt_i32_e32 vcc, 0, v6
	v_cndmask_b32_e64 v4, v61, 0, vcc
	v_xor_b32_e32 v45, v4, v6
	s_waitcnt vmcnt(0)
	v_add_u32_e32 v37, 2, v46
	v_cmp_ge_u32_e32 vcc, v45, v40
	s_mov_b64 s[56:57], 0
                                        ; implicit-def: $vgpr43
                                        ; implicit-def: $vgpr4_vgpr5
	s_and_saveexec_b64 s[54:55], vcc
	s_xor_b64 s[54:55], exec, s[54:55]
	s_cbranch_execz .LBB1_302
; %bb.296:                              ;   in Loop: Header=BB1_163 Depth=2
	v_cmp_eq_u32_e32 vcc, v45, v40
	s_mov_b64 s[58:59], 0
                                        ; implicit-def: $vgpr43
                                        ; implicit-def: $vgpr4_vgpr5
	s_and_saveexec_b64 s[56:57], vcc
	s_cbranch_execz .LBB1_314
; %bb.297:                              ;   in Loop: Header=BB1_163 Depth=2
	s_mov_b64 s[60:61], exec
	v_mbcnt_lo_u32_b32 v4, s60, 0
	v_mbcnt_hi_u32_b32 v4, s61, v4
	v_cmp_eq_u32_e32 vcc, 0, v4
                                        ; implicit-def: $vgpr5
	s_and_saveexec_b64 s[58:59], vcc
	s_cbranch_execz .LBB1_299
; %bb.298:                              ;   in Loop: Header=BB1_163 Depth=2
	s_bcnt1_i32_b64 s44, s[60:61]
	v_mov_b32_e32 v5, s44
	global_atomic_add v5, v29, v5, s[28:29] offset:512 glc
.LBB1_299:                              ;   in Loop: Header=BB1_163 Depth=2
	s_or_b64 exec, exec, s[58:59]
	s_waitcnt vmcnt(0)
	v_readfirstlane_b32 s44, v5
	v_add_u32_e32 v45, s44, v4
	v_cmp_lt_i32_e32 vcc, v45, v41
	s_mov_b64 s[60:61], 0
                                        ; implicit-def: $vgpr43
                                        ; implicit-def: $vgpr4_vgpr5
	s_and_saveexec_b64 s[58:59], vcc
	s_cbranch_execz .LBB1_313
; %bb.300:                              ;   in Loop: Header=BB1_163 Depth=2
	v_xad_u32 v4, v45, -1, s73
	v_ashrrev_i32_e32 v5, 31, v4
	v_lshlrev_b64 v[48:49], 2, v[4:5]
	v_mov_b32_e32 v43, s64
	v_add_co_u32_e32 v48, vcc, s63, v48
	v_addc_co_u32_e32 v49, vcc, v43, v49, vcc
	s_andn2_b64 vcc, exec, s[6:7]
	global_store_dword v[48:49], v6, off
	s_cbranch_vccnz .LBB1_310
; %bb.301:                              ;   in Loop: Header=BB1_163 Depth=2
	v_ashrrev_i32_e32 v47, 31, v46
	v_lshlrev_b64 v[48:49], 2, v[46:47]
	v_mov_b32_e32 v43, s67
	v_add_co_u32_e32 v48, vcc, s66, v48
	v_addc_co_u32_e32 v49, vcc, v43, v49, vcc
	global_load_dword v43, v[48:49], off
	s_andn2_b64 vcc, exec, s[60:61]
	s_cbranch_vccz .LBB1_311
	s_branch .LBB1_312
.LBB1_302:                              ;   in Loop: Header=BB1_163 Depth=2
	s_andn2_saveexec_b64 s[54:55], s[54:55]
	s_cbranch_execz .LBB1_315
.LBB1_303:                              ;   in Loop: Header=BB1_163 Depth=2
	s_mov_b64 s[60:61], exec
	v_mbcnt_lo_u32_b32 v4, s60, 0
	v_mbcnt_hi_u32_b32 v4, s61, v4
	v_cmp_eq_u32_e32 vcc, 0, v4
                                        ; implicit-def: $vgpr5
	s_and_saveexec_b64 s[58:59], vcc
	s_cbranch_execz .LBB1_305
; %bb.304:                              ;   in Loop: Header=BB1_163 Depth=2
	s_bcnt1_i32_b64 s44, s[60:61]
	v_mov_b32_e32 v5, s44
	global_atomic_add v5, v29, v5, s[28:29] offset:384 glc
.LBB1_305:                              ;   in Loop: Header=BB1_163 Depth=2
	s_or_b64 exec, exec, s[58:59]
	s_waitcnt vmcnt(0)
	v_readfirstlane_b32 s44, v5
	v_add_u32_e32 v4, s44, v4
	v_ashrrev_i32_e32 v5, 31, v4
	v_lshlrev_b64 v[48:49], 2, v[4:5]
	v_mov_b32_e32 v43, s64
	v_add_co_u32_e32 v48, vcc, s63, v48
	v_addc_co_u32_e32 v49, vcc, v43, v49, vcc
	s_andn2_b64 vcc, exec, s[6:7]
	global_store_dword v[48:49], v6, off
	s_cbranch_vccnz .LBB1_307
; %bb.306:                              ;   in Loop: Header=BB1_163 Depth=2
	v_ashrrev_i32_e32 v47, 31, v46
	v_lshlrev_b64 v[48:49], 2, v[46:47]
	v_mov_b32_e32 v6, s67
	v_add_co_u32_e32 v48, vcc, s66, v48
	v_addc_co_u32_e32 v49, vcc, v6, v49, vcc
	global_load_dword v43, v[48:49], off
	s_cbranch_execz .LBB1_308
	s_branch .LBB1_309
.LBB1_307:                              ;   in Loop: Header=BB1_163 Depth=2
                                        ; implicit-def: $vgpr43
.LBB1_308:                              ;   in Loop: Header=BB1_163 Depth=2
	s_waitcnt vmcnt(0)
	v_add_u32_e32 v43, s25, v37
.LBB1_309:                              ;   in Loop: Header=BB1_163 Depth=2
	s_or_b64 s[56:57], s[56:57], exec
	s_or_b64 exec, exec, s[54:55]
	s_and_saveexec_b64 s[54:55], s[56:57]
	s_cbranch_execnz .LBB1_316
	s_branch .LBB1_317
.LBB1_310:                              ;   in Loop: Header=BB1_163 Depth=2
                                        ; implicit-def: $vgpr43
.LBB1_311:                              ;   in Loop: Header=BB1_163 Depth=2
	s_waitcnt vmcnt(0)
	v_add_u32_e32 v43, s25, v37
.LBB1_312:                              ;   in Loop: Header=BB1_163 Depth=2
	s_mov_b64 s[60:61], exec
.LBB1_313:                              ;   in Loop: Header=BB1_163 Depth=2
	s_or_b64 exec, exec, s[58:59]
	s_and_b64 s[58:59], s[60:61], exec
.LBB1_314:                              ;   in Loop: Header=BB1_163 Depth=2
	s_or_b64 exec, exec, s[56:57]
	s_and_b64 s[56:57], s[58:59], exec
                                        ; implicit-def: $vgpr37
	s_andn2_saveexec_b64 s[54:55], s[54:55]
	s_cbranch_execnz .LBB1_303
.LBB1_315:                              ;   in Loop: Header=BB1_163 Depth=2
	s_or_b64 exec, exec, s[54:55]
	s_and_saveexec_b64 s[54:55], s[56:57]
	s_cbranch_execz .LBB1_317
.LBB1_316:                              ;   in Loop: Header=BB1_163 Depth=2
	v_lshlrev_b64 v[4:5], 2, v[4:5]
	v_mov_b32_e32 v6, s62
	v_add_co_u32_e32 v4, vcc, s33, v4
	v_addc_co_u32_e32 v5, vcc, v6, v5, vcc
	s_waitcnt vmcnt(0)
	global_store_dword v[4:5], v43, off
.LBB1_317:                              ;   in Loop: Header=BB1_163 Depth=2
	s_or_b64 exec, exec, s[54:55]
	v_cmp_gt_i32_e32 vcc, 0, v7
	v_cndmask_b32_e64 v4, v61, 0, vcc
	v_xor_b32_e32 v4, v4, v7
	v_add_u32_e32 v37, 3, v46
	v_cmp_ge_u32_e32 vcc, v4, v40
	s_mov_b64 s[56:57], 0
                                        ; implicit-def: $vgpr43
                                        ; implicit-def: $vgpr48_vgpr49
	s_and_saveexec_b64 s[54:55], vcc
	s_xor_b64 s[54:55], exec, s[54:55]
	s_cbranch_execz .LBB1_324
; %bb.318:                              ;   in Loop: Header=BB1_163 Depth=2
	v_cmp_eq_u32_e32 vcc, v4, v40
	s_mov_b64 s[58:59], 0
                                        ; implicit-def: $vgpr43
                                        ; implicit-def: $vgpr48_vgpr49
	s_and_saveexec_b64 s[56:57], vcc
	s_cbranch_execz .LBB1_336
; %bb.319:                              ;   in Loop: Header=BB1_163 Depth=2
	s_mov_b64 s[60:61], exec
	v_mbcnt_lo_u32_b32 v4, s60, 0
	v_mbcnt_hi_u32_b32 v4, s61, v4
	v_cmp_eq_u32_e32 vcc, 0, v4
                                        ; implicit-def: $vgpr5
	s_and_saveexec_b64 s[58:59], vcc
	s_cbranch_execz .LBB1_321
; %bb.320:                              ;   in Loop: Header=BB1_163 Depth=2
	s_bcnt1_i32_b64 s44, s[60:61]
	v_mov_b32_e32 v5, s44
	global_atomic_add v5, v29, v5, s[28:29] offset:512 glc
.LBB1_321:                              ;   in Loop: Header=BB1_163 Depth=2
	s_or_b64 exec, exec, s[58:59]
	s_waitcnt vmcnt(0)
	v_readfirstlane_b32 s44, v5
	v_add_u32_e32 v4, s44, v4
	v_cmp_lt_i32_e32 vcc, v4, v41
	s_mov_b64 s[60:61], 0
                                        ; implicit-def: $vgpr43
                                        ; implicit-def: $vgpr48_vgpr49
	s_and_saveexec_b64 s[58:59], vcc
	s_cbranch_execz .LBB1_335
; %bb.322:                              ;   in Loop: Header=BB1_163 Depth=2
	v_xad_u32 v48, v4, -1, s73
	v_ashrrev_i32_e32 v49, 31, v48
	v_lshlrev_b64 v[4:5], 2, v[48:49]
	v_mov_b32_e32 v6, s64
	v_add_co_u32_e32 v4, vcc, s63, v4
	v_addc_co_u32_e32 v5, vcc, v6, v5, vcc
	s_andn2_b64 vcc, exec, s[6:7]
	global_store_dword v[4:5], v7, off
	s_cbranch_vccnz .LBB1_332
; %bb.323:                              ;   in Loop: Header=BB1_163 Depth=2
	v_ashrrev_i32_e32 v47, 31, v46
	v_lshlrev_b64 v[4:5], 2, v[46:47]
	v_mov_b32_e32 v6, s69
	v_add_co_u32_e32 v4, vcc, s68, v4
	v_addc_co_u32_e32 v5, vcc, v6, v5, vcc
	global_load_dword v43, v[4:5], off
	s_andn2_b64 vcc, exec, s[60:61]
	s_cbranch_vccz .LBB1_333
	s_branch .LBB1_334
.LBB1_324:                              ;   in Loop: Header=BB1_163 Depth=2
	s_andn2_saveexec_b64 s[54:55], s[54:55]
	s_cbranch_execz .LBB1_337
.LBB1_325:                              ;   in Loop: Header=BB1_163 Depth=2
	s_mov_b64 s[60:61], exec
	v_mbcnt_lo_u32_b32 v4, s60, 0
	v_mbcnt_hi_u32_b32 v4, s61, v4
	v_cmp_eq_u32_e32 vcc, 0, v4
                                        ; implicit-def: $vgpr5
	s_and_saveexec_b64 s[58:59], vcc
	s_cbranch_execz .LBB1_327
; %bb.326:                              ;   in Loop: Header=BB1_163 Depth=2
	s_bcnt1_i32_b64 s44, s[60:61]
	v_mov_b32_e32 v5, s44
	global_atomic_add v5, v29, v5, s[28:29] offset:384 glc
.LBB1_327:                              ;   in Loop: Header=BB1_163 Depth=2
	s_or_b64 exec, exec, s[58:59]
	s_waitcnt vmcnt(0)
	v_readfirstlane_b32 s44, v5
	v_add_u32_e32 v48, s44, v4
	v_ashrrev_i32_e32 v49, 31, v48
	v_lshlrev_b64 v[4:5], 2, v[48:49]
	v_mov_b32_e32 v6, s64
	v_add_co_u32_e32 v4, vcc, s63, v4
	v_addc_co_u32_e32 v5, vcc, v6, v5, vcc
	s_andn2_b64 vcc, exec, s[6:7]
	global_store_dword v[4:5], v7, off
	s_cbranch_vccnz .LBB1_329
; %bb.328:                              ;   in Loop: Header=BB1_163 Depth=2
	v_ashrrev_i32_e32 v47, 31, v46
	v_lshlrev_b64 v[4:5], 2, v[46:47]
	v_mov_b32_e32 v6, s69
	v_add_co_u32_e32 v4, vcc, s68, v4
	v_addc_co_u32_e32 v5, vcc, v6, v5, vcc
	global_load_dword v43, v[4:5], off
	s_cbranch_execz .LBB1_330
	s_branch .LBB1_331
.LBB1_329:                              ;   in Loop: Header=BB1_163 Depth=2
                                        ; implicit-def: $vgpr43
.LBB1_330:                              ;   in Loop: Header=BB1_163 Depth=2
	s_waitcnt vmcnt(0)
	v_add_u32_e32 v43, s25, v37
.LBB1_331:                              ;   in Loop: Header=BB1_163 Depth=2
	s_or_b64 s[56:57], s[56:57], exec
	s_or_b64 exec, exec, s[54:55]
	s_and_saveexec_b64 s[54:55], s[56:57]
	s_cbranch_execnz .LBB1_338
	s_branch .LBB1_339
.LBB1_332:                              ;   in Loop: Header=BB1_163 Depth=2
                                        ; implicit-def: $vgpr43
.LBB1_333:                              ;   in Loop: Header=BB1_163 Depth=2
	s_waitcnt vmcnt(0)
	v_add_u32_e32 v43, s25, v37
.LBB1_334:                              ;   in Loop: Header=BB1_163 Depth=2
	s_mov_b64 s[60:61], exec
.LBB1_335:                              ;   in Loop: Header=BB1_163 Depth=2
	s_or_b64 exec, exec, s[58:59]
	s_and_b64 s[58:59], s[60:61], exec
.LBB1_336:                              ;   in Loop: Header=BB1_163 Depth=2
	s_or_b64 exec, exec, s[56:57]
	s_and_b64 s[56:57], s[58:59], exec
                                        ; implicit-def: $vgpr37
                                        ; implicit-def: $vgpr46
                                        ; implicit-def: $vgpr4_vgpr5_vgpr6_vgpr7
	s_andn2_saveexec_b64 s[54:55], s[54:55]
	s_cbranch_execnz .LBB1_325
.LBB1_337:                              ;   in Loop: Header=BB1_163 Depth=2
	s_or_b64 exec, exec, s[54:55]
	s_and_saveexec_b64 s[54:55], s[56:57]
	s_cbranch_execz .LBB1_339
.LBB1_338:                              ;   in Loop: Header=BB1_163 Depth=2
	v_lshlrev_b64 v[4:5], 2, v[48:49]
	v_mov_b32_e32 v6, s62
	v_add_co_u32_e32 v4, vcc, s33, v4
	v_addc_co_u32_e32 v5, vcc, v6, v5, vcc
	s_waitcnt vmcnt(0)
	global_store_dword v[4:5], v43, off
.LBB1_339:                              ;   in Loop: Header=BB1_163 Depth=2
	s_or_b64 exec, exec, s[54:55]
	v_cmp_gt_i32_e32 vcc, 0, v8
	v_cndmask_b32_e64 v5, v61, 0, vcc
	v_add_u32_e32 v4, s30, v28
	v_xor_b32_e32 v28, v5, v8
	v_lshl_add_u32 v4, v4, 2, s36
	v_cmp_ge_u32_e32 vcc, v28, v40
	s_mov_b64 s[56:57], 0
                                        ; implicit-def: $vgpr5
                                        ; implicit-def: $vgpr6_vgpr7
	s_and_saveexec_b64 s[54:55], vcc
	s_xor_b64 s[54:55], exec, s[54:55]
	s_cbranch_execz .LBB1_346
; %bb.340:                              ;   in Loop: Header=BB1_163 Depth=2
	v_cmp_eq_u32_e32 vcc, v28, v40
	s_mov_b64 s[58:59], 0
                                        ; implicit-def: $vgpr5
                                        ; implicit-def: $vgpr6_vgpr7
	s_and_saveexec_b64 s[56:57], vcc
	s_cbranch_execz .LBB1_358
; %bb.341:                              ;   in Loop: Header=BB1_163 Depth=2
	s_mov_b64 s[60:61], exec
	v_mbcnt_lo_u32_b32 v5, s60, 0
	v_mbcnt_hi_u32_b32 v5, s61, v5
	v_cmp_eq_u32_e32 vcc, 0, v5
                                        ; implicit-def: $vgpr6
	s_and_saveexec_b64 s[58:59], vcc
	s_cbranch_execz .LBB1_343
; %bb.342:                              ;   in Loop: Header=BB1_163 Depth=2
	s_bcnt1_i32_b64 s44, s[60:61]
	v_mov_b32_e32 v6, s44
	global_atomic_add v6, v29, v6, s[28:29] offset:512 glc
.LBB1_343:                              ;   in Loop: Header=BB1_163 Depth=2
	s_or_b64 exec, exec, s[58:59]
	s_waitcnt vmcnt(0)
	v_readfirstlane_b32 s44, v6
	v_add_u32_e32 v28, s44, v5
	v_cmp_lt_i32_e32 vcc, v28, v41
	s_mov_b64 s[60:61], 0
                                        ; implicit-def: $vgpr5
                                        ; implicit-def: $vgpr6_vgpr7
	s_and_saveexec_b64 s[58:59], vcc
	s_xor_b64 s[58:59], exec, s[58:59]
	s_cbranch_execz .LBB1_357
; %bb.344:                              ;   in Loop: Header=BB1_163 Depth=2
	v_xad_u32 v6, v28, -1, s73
	v_ashrrev_i32_e32 v7, 31, v6
	v_lshlrev_b64 v[46:47], 2, v[6:7]
	v_mov_b32_e32 v5, s64
	v_add_co_u32_e32 v46, vcc, s63, v46
	v_addc_co_u32_e32 v47, vcc, v5, v47, vcc
	s_andn2_b64 vcc, exec, s[6:7]
	global_store_dword v[46:47], v8, off
	s_cbranch_vccnz .LBB1_354
; %bb.345:                              ;   in Loop: Header=BB1_163 Depth=2
	v_ashrrev_i32_e32 v5, 31, v4
	v_lshlrev_b64 v[46:47], 2, v[4:5]
	v_mov_b32_e32 v5, s27
	v_add_co_u32_e32 v46, vcc, s26, v46
	v_addc_co_u32_e32 v47, vcc, v5, v47, vcc
	global_load_dword v5, v[46:47], off
	s_andn2_b64 vcc, exec, s[60:61]
	s_cbranch_vccz .LBB1_355
	s_branch .LBB1_356
.LBB1_346:                              ;   in Loop: Header=BB1_163 Depth=2
	s_andn2_saveexec_b64 s[54:55], s[54:55]
	s_cbranch_execz .LBB1_359
.LBB1_347:                              ;   in Loop: Header=BB1_163 Depth=2
	s_mov_b64 s[60:61], exec
	s_waitcnt vmcnt(0)
	v_mbcnt_lo_u32_b32 v5, s60, 0
	v_mbcnt_hi_u32_b32 v5, s61, v5
	v_cmp_eq_u32_e32 vcc, 0, v5
                                        ; implicit-def: $vgpr6
	s_and_saveexec_b64 s[58:59], vcc
	s_cbranch_execz .LBB1_349
; %bb.348:                              ;   in Loop: Header=BB1_163 Depth=2
	s_bcnt1_i32_b64 s44, s[60:61]
	v_mov_b32_e32 v6, s44
	global_atomic_add v6, v29, v6, s[28:29] offset:384 glc
.LBB1_349:                              ;   in Loop: Header=BB1_163 Depth=2
	s_or_b64 exec, exec, s[58:59]
	s_waitcnt vmcnt(0)
	v_readfirstlane_b32 s44, v6
	v_add_u32_e32 v6, s44, v5
	v_ashrrev_i32_e32 v7, 31, v6
	v_lshlrev_b64 v[46:47], 2, v[6:7]
	v_mov_b32_e32 v5, s64
	v_add_co_u32_e32 v46, vcc, s63, v46
	v_addc_co_u32_e32 v47, vcc, v5, v47, vcc
	s_andn2_b64 vcc, exec, s[6:7]
	global_store_dword v[46:47], v8, off
	s_cbranch_vccnz .LBB1_351
; %bb.350:                              ;   in Loop: Header=BB1_163 Depth=2
	v_ashrrev_i32_e32 v5, 31, v4
	v_lshlrev_b64 v[46:47], 2, v[4:5]
	v_mov_b32_e32 v5, s27
	v_add_co_u32_e32 v46, vcc, s26, v46
	v_addc_co_u32_e32 v47, vcc, v5, v47, vcc
	global_load_dword v5, v[46:47], off
	s_cbranch_execz .LBB1_352
	s_branch .LBB1_353
.LBB1_351:                              ;   in Loop: Header=BB1_163 Depth=2
                                        ; implicit-def: $vgpr5
.LBB1_352:                              ;   in Loop: Header=BB1_163 Depth=2
	s_waitcnt vmcnt(0)
	v_add_u32_e32 v5, s25, v4
.LBB1_353:                              ;   in Loop: Header=BB1_163 Depth=2
	s_or_b64 s[56:57], s[56:57], exec
	s_or_b64 exec, exec, s[54:55]
	s_and_saveexec_b64 s[54:55], s[56:57]
	s_cbranch_execnz .LBB1_360
	s_branch .LBB1_361
.LBB1_354:                              ;   in Loop: Header=BB1_163 Depth=2
                                        ; implicit-def: $vgpr5
.LBB1_355:                              ;   in Loop: Header=BB1_163 Depth=2
	s_waitcnt vmcnt(0)
	v_add_u32_e32 v5, s25, v4
.LBB1_356:                              ;   in Loop: Header=BB1_163 Depth=2
	s_mov_b64 s[60:61], exec
.LBB1_357:                              ;   in Loop: Header=BB1_163 Depth=2
	s_or_b64 exec, exec, s[58:59]
	s_and_b64 s[58:59], s[60:61], exec
.LBB1_358:                              ;   in Loop: Header=BB1_163 Depth=2
	s_or_b64 exec, exec, s[56:57]
	s_and_b64 s[56:57], s[58:59], exec
	s_andn2_saveexec_b64 s[54:55], s[54:55]
	s_cbranch_execnz .LBB1_347
.LBB1_359:                              ;   in Loop: Header=BB1_163 Depth=2
	s_or_b64 exec, exec, s[54:55]
	s_and_saveexec_b64 s[54:55], s[56:57]
	s_cbranch_execz .LBB1_361
.LBB1_360:                              ;   in Loop: Header=BB1_163 Depth=2
	v_lshlrev_b64 v[6:7], 2, v[6:7]
	v_mov_b32_e32 v8, s62
	v_add_co_u32_e32 v6, vcc, s33, v6
	v_addc_co_u32_e32 v7, vcc, v8, v7, vcc
	s_waitcnt vmcnt(0)
	global_store_dword v[6:7], v5, off
.LBB1_361:                              ;   in Loop: Header=BB1_163 Depth=2
	s_or_b64 exec, exec, s[54:55]
	v_cmp_gt_i32_e32 vcc, 0, v9
	s_waitcnt vmcnt(0)
	v_cndmask_b32_e64 v5, v61, 0, vcc
	v_xor_b32_e32 v28, v5, v9
	v_add_u32_e32 v8, 1, v4
	v_cmp_ge_u32_e32 vcc, v28, v40
	s_mov_b64 s[56:57], 0
                                        ; implicit-def: $vgpr5
                                        ; implicit-def: $vgpr6_vgpr7
	s_and_saveexec_b64 s[54:55], vcc
	s_xor_b64 s[54:55], exec, s[54:55]
	s_cbranch_execz .LBB1_368
; %bb.362:                              ;   in Loop: Header=BB1_163 Depth=2
	v_cmp_eq_u32_e32 vcc, v28, v40
	s_mov_b64 s[58:59], 0
                                        ; implicit-def: $vgpr5
                                        ; implicit-def: $vgpr6_vgpr7
	s_and_saveexec_b64 s[56:57], vcc
	s_cbranch_execz .LBB1_380
; %bb.363:                              ;   in Loop: Header=BB1_163 Depth=2
	s_mov_b64 s[60:61], exec
	v_mbcnt_lo_u32_b32 v5, s60, 0
	v_mbcnt_hi_u32_b32 v5, s61, v5
	v_cmp_eq_u32_e32 vcc, 0, v5
                                        ; implicit-def: $vgpr6
	s_and_saveexec_b64 s[58:59], vcc
	s_cbranch_execz .LBB1_365
; %bb.364:                              ;   in Loop: Header=BB1_163 Depth=2
	s_bcnt1_i32_b64 s44, s[60:61]
	v_mov_b32_e32 v6, s44
	global_atomic_add v6, v29, v6, s[28:29] offset:512 glc
.LBB1_365:                              ;   in Loop: Header=BB1_163 Depth=2
	s_or_b64 exec, exec, s[58:59]
	s_waitcnt vmcnt(0)
	v_readfirstlane_b32 s44, v6
	v_add_u32_e32 v28, s44, v5
	v_cmp_lt_i32_e32 vcc, v28, v41
	s_mov_b64 s[60:61], 0
                                        ; implicit-def: $vgpr5
                                        ; implicit-def: $vgpr6_vgpr7
	s_and_saveexec_b64 s[58:59], vcc
	s_cbranch_execz .LBB1_379
; %bb.366:                              ;   in Loop: Header=BB1_163 Depth=2
	v_xad_u32 v6, v28, -1, s73
	v_ashrrev_i32_e32 v7, 31, v6
	v_lshlrev_b64 v[46:47], 2, v[6:7]
	v_mov_b32_e32 v5, s64
	v_add_co_u32_e32 v46, vcc, s63, v46
	v_addc_co_u32_e32 v47, vcc, v5, v47, vcc
	s_andn2_b64 vcc, exec, s[6:7]
	global_store_dword v[46:47], v9, off
	s_cbranch_vccnz .LBB1_376
; %bb.367:                              ;   in Loop: Header=BB1_163 Depth=2
	v_ashrrev_i32_e32 v5, 31, v4
	v_lshlrev_b64 v[46:47], 2, v[4:5]
	v_mov_b32_e32 v5, s37
	v_add_co_u32_e32 v46, vcc, s31, v46
	v_addc_co_u32_e32 v47, vcc, v5, v47, vcc
	global_load_dword v5, v[46:47], off
	s_andn2_b64 vcc, exec, s[60:61]
	s_cbranch_vccz .LBB1_377
	s_branch .LBB1_378
.LBB1_368:                              ;   in Loop: Header=BB1_163 Depth=2
	s_andn2_saveexec_b64 s[54:55], s[54:55]
	s_cbranch_execz .LBB1_381
.LBB1_369:                              ;   in Loop: Header=BB1_163 Depth=2
	s_mov_b64 s[60:61], exec
	s_waitcnt vmcnt(0)
	v_mbcnt_lo_u32_b32 v5, s60, 0
	v_mbcnt_hi_u32_b32 v5, s61, v5
	v_cmp_eq_u32_e32 vcc, 0, v5
                                        ; implicit-def: $vgpr6
	s_and_saveexec_b64 s[58:59], vcc
	s_cbranch_execz .LBB1_371
; %bb.370:                              ;   in Loop: Header=BB1_163 Depth=2
	s_bcnt1_i32_b64 s44, s[60:61]
	v_mov_b32_e32 v6, s44
	global_atomic_add v6, v29, v6, s[28:29] offset:384 glc
.LBB1_371:                              ;   in Loop: Header=BB1_163 Depth=2
	s_or_b64 exec, exec, s[58:59]
	s_waitcnt vmcnt(0)
	v_readfirstlane_b32 s44, v6
	v_add_u32_e32 v6, s44, v5
	v_ashrrev_i32_e32 v7, 31, v6
	v_lshlrev_b64 v[46:47], 2, v[6:7]
	v_mov_b32_e32 v5, s64
	v_add_co_u32_e32 v46, vcc, s63, v46
	v_addc_co_u32_e32 v47, vcc, v5, v47, vcc
	s_andn2_b64 vcc, exec, s[6:7]
	global_store_dword v[46:47], v9, off
	s_cbranch_vccnz .LBB1_373
; %bb.372:                              ;   in Loop: Header=BB1_163 Depth=2
	v_ashrrev_i32_e32 v5, 31, v4
	v_lshlrev_b64 v[46:47], 2, v[4:5]
	v_mov_b32_e32 v5, s37
	v_add_co_u32_e32 v46, vcc, s31, v46
	v_addc_co_u32_e32 v47, vcc, v5, v47, vcc
	global_load_dword v5, v[46:47], off
	s_cbranch_execz .LBB1_374
	s_branch .LBB1_375
.LBB1_373:                              ;   in Loop: Header=BB1_163 Depth=2
                                        ; implicit-def: $vgpr5
.LBB1_374:                              ;   in Loop: Header=BB1_163 Depth=2
	s_waitcnt vmcnt(0)
	v_add_u32_e32 v5, s25, v8
.LBB1_375:                              ;   in Loop: Header=BB1_163 Depth=2
	s_or_b64 s[56:57], s[56:57], exec
	s_or_b64 exec, exec, s[54:55]
	s_and_saveexec_b64 s[54:55], s[56:57]
	s_cbranch_execnz .LBB1_382
	s_branch .LBB1_383
.LBB1_376:                              ;   in Loop: Header=BB1_163 Depth=2
                                        ; implicit-def: $vgpr5
.LBB1_377:                              ;   in Loop: Header=BB1_163 Depth=2
	s_waitcnt vmcnt(0)
	v_add_u32_e32 v5, s25, v8
.LBB1_378:                              ;   in Loop: Header=BB1_163 Depth=2
	s_mov_b64 s[60:61], exec
.LBB1_379:                              ;   in Loop: Header=BB1_163 Depth=2
	s_or_b64 exec, exec, s[58:59]
	s_and_b64 s[58:59], s[60:61], exec
.LBB1_380:                              ;   in Loop: Header=BB1_163 Depth=2
	s_or_b64 exec, exec, s[56:57]
	s_and_b64 s[56:57], s[58:59], exec
                                        ; implicit-def: $vgpr8
	s_andn2_saveexec_b64 s[54:55], s[54:55]
	s_cbranch_execnz .LBB1_369
.LBB1_381:                              ;   in Loop: Header=BB1_163 Depth=2
	s_or_b64 exec, exec, s[54:55]
	s_and_saveexec_b64 s[54:55], s[56:57]
	s_cbranch_execz .LBB1_383
.LBB1_382:                              ;   in Loop: Header=BB1_163 Depth=2
	v_lshlrev_b64 v[6:7], 2, v[6:7]
	v_mov_b32_e32 v8, s62
	v_add_co_u32_e32 v6, vcc, s33, v6
	v_addc_co_u32_e32 v7, vcc, v8, v7, vcc
	s_waitcnt vmcnt(0)
	global_store_dword v[6:7], v5, off
.LBB1_383:                              ;   in Loop: Header=BB1_163 Depth=2
	s_or_b64 exec, exec, s[54:55]
	v_cmp_gt_i32_e32 vcc, 0, v10
	s_waitcnt vmcnt(0)
	v_cndmask_b32_e64 v5, v61, 0, vcc
	v_xor_b32_e32 v9, v5, v10
	v_add_u32_e32 v8, 2, v4
	v_cmp_ge_u32_e32 vcc, v9, v40
	s_mov_b64 s[56:57], 0
                                        ; implicit-def: $vgpr5
                                        ; implicit-def: $vgpr6_vgpr7
	s_and_saveexec_b64 s[54:55], vcc
	s_xor_b64 s[54:55], exec, s[54:55]
	s_cbranch_execz .LBB1_390
; %bb.384:                              ;   in Loop: Header=BB1_163 Depth=2
	v_cmp_eq_u32_e32 vcc, v9, v40
	s_mov_b64 s[58:59], 0
                                        ; implicit-def: $vgpr5
                                        ; implicit-def: $vgpr6_vgpr7
	s_and_saveexec_b64 s[56:57], vcc
	s_cbranch_execz .LBB1_402
; %bb.385:                              ;   in Loop: Header=BB1_163 Depth=2
	s_mov_b64 s[60:61], exec
	v_mbcnt_lo_u32_b32 v5, s60, 0
	v_mbcnt_hi_u32_b32 v5, s61, v5
	v_cmp_eq_u32_e32 vcc, 0, v5
                                        ; implicit-def: $vgpr6
	s_and_saveexec_b64 s[58:59], vcc
	s_cbranch_execz .LBB1_387
; %bb.386:                              ;   in Loop: Header=BB1_163 Depth=2
	s_bcnt1_i32_b64 s44, s[60:61]
	v_mov_b32_e32 v6, s44
	global_atomic_add v6, v29, v6, s[28:29] offset:512 glc
.LBB1_387:                              ;   in Loop: Header=BB1_163 Depth=2
	s_or_b64 exec, exec, s[58:59]
	s_waitcnt vmcnt(0)
	v_readfirstlane_b32 s44, v6
	v_add_u32_e32 v9, s44, v5
	v_cmp_lt_i32_e32 vcc, v9, v41
	s_mov_b64 s[60:61], 0
                                        ; implicit-def: $vgpr5
                                        ; implicit-def: $vgpr6_vgpr7
	s_and_saveexec_b64 s[58:59], vcc
	s_cbranch_execz .LBB1_401
; %bb.388:                              ;   in Loop: Header=BB1_163 Depth=2
	v_xad_u32 v6, v9, -1, s73
	v_ashrrev_i32_e32 v7, 31, v6
	v_lshlrev_b64 v[46:47], 2, v[6:7]
	v_mov_b32_e32 v5, s64
	v_add_co_u32_e32 v46, vcc, s63, v46
	v_addc_co_u32_e32 v47, vcc, v5, v47, vcc
	s_andn2_b64 vcc, exec, s[6:7]
	global_store_dword v[46:47], v10, off
	s_cbranch_vccnz .LBB1_398
; %bb.389:                              ;   in Loop: Header=BB1_163 Depth=2
	v_ashrrev_i32_e32 v5, 31, v4
	v_lshlrev_b64 v[46:47], 2, v[4:5]
	v_mov_b32_e32 v5, s67
	v_add_co_u32_e32 v46, vcc, s66, v46
	v_addc_co_u32_e32 v47, vcc, v5, v47, vcc
	global_load_dword v5, v[46:47], off
	s_andn2_b64 vcc, exec, s[60:61]
	s_cbranch_vccz .LBB1_399
	s_branch .LBB1_400
.LBB1_390:                              ;   in Loop: Header=BB1_163 Depth=2
	s_andn2_saveexec_b64 s[54:55], s[54:55]
	s_cbranch_execz .LBB1_403
.LBB1_391:                              ;   in Loop: Header=BB1_163 Depth=2
	s_mov_b64 s[60:61], exec
	s_waitcnt vmcnt(0)
	v_mbcnt_lo_u32_b32 v5, s60, 0
	v_mbcnt_hi_u32_b32 v5, s61, v5
	v_cmp_eq_u32_e32 vcc, 0, v5
                                        ; implicit-def: $vgpr6
	s_and_saveexec_b64 s[58:59], vcc
	s_cbranch_execz .LBB1_393
; %bb.392:                              ;   in Loop: Header=BB1_163 Depth=2
	s_bcnt1_i32_b64 s44, s[60:61]
	v_mov_b32_e32 v6, s44
	global_atomic_add v6, v29, v6, s[28:29] offset:384 glc
.LBB1_393:                              ;   in Loop: Header=BB1_163 Depth=2
	s_or_b64 exec, exec, s[58:59]
	s_waitcnt vmcnt(0)
	v_readfirstlane_b32 s44, v6
	v_add_u32_e32 v6, s44, v5
	v_ashrrev_i32_e32 v7, 31, v6
	v_lshlrev_b64 v[46:47], 2, v[6:7]
	v_mov_b32_e32 v5, s64
	v_add_co_u32_e32 v46, vcc, s63, v46
	v_addc_co_u32_e32 v47, vcc, v5, v47, vcc
	s_andn2_b64 vcc, exec, s[6:7]
	global_store_dword v[46:47], v10, off
	s_cbranch_vccnz .LBB1_395
; %bb.394:                              ;   in Loop: Header=BB1_163 Depth=2
	v_ashrrev_i32_e32 v5, 31, v4
	v_lshlrev_b64 v[46:47], 2, v[4:5]
	v_mov_b32_e32 v5, s67
	v_add_co_u32_e32 v46, vcc, s66, v46
	v_addc_co_u32_e32 v47, vcc, v5, v47, vcc
	global_load_dword v5, v[46:47], off
	s_cbranch_execz .LBB1_396
	s_branch .LBB1_397
.LBB1_395:                              ;   in Loop: Header=BB1_163 Depth=2
                                        ; implicit-def: $vgpr5
.LBB1_396:                              ;   in Loop: Header=BB1_163 Depth=2
	s_waitcnt vmcnt(0)
	v_add_u32_e32 v5, s25, v8
.LBB1_397:                              ;   in Loop: Header=BB1_163 Depth=2
	s_or_b64 s[56:57], s[56:57], exec
	s_or_b64 exec, exec, s[54:55]
	s_and_saveexec_b64 s[54:55], s[56:57]
	s_cbranch_execnz .LBB1_404
	s_branch .LBB1_405
.LBB1_398:                              ;   in Loop: Header=BB1_163 Depth=2
                                        ; implicit-def: $vgpr5
.LBB1_399:                              ;   in Loop: Header=BB1_163 Depth=2
	s_waitcnt vmcnt(0)
	v_add_u32_e32 v5, s25, v8
.LBB1_400:                              ;   in Loop: Header=BB1_163 Depth=2
	s_mov_b64 s[60:61], exec
.LBB1_401:                              ;   in Loop: Header=BB1_163 Depth=2
	s_or_b64 exec, exec, s[58:59]
	s_and_b64 s[58:59], s[60:61], exec
.LBB1_402:                              ;   in Loop: Header=BB1_163 Depth=2
	s_or_b64 exec, exec, s[56:57]
	s_and_b64 s[56:57], s[58:59], exec
                                        ; implicit-def: $vgpr8
	s_andn2_saveexec_b64 s[54:55], s[54:55]
	s_cbranch_execnz .LBB1_391
.LBB1_403:                              ;   in Loop: Header=BB1_163 Depth=2
	s_or_b64 exec, exec, s[54:55]
	s_and_saveexec_b64 s[54:55], s[56:57]
	s_cbranch_execz .LBB1_405
.LBB1_404:                              ;   in Loop: Header=BB1_163 Depth=2
	v_lshlrev_b64 v[6:7], 2, v[6:7]
	v_mov_b32_e32 v8, s62
	v_add_co_u32_e32 v6, vcc, s33, v6
	v_addc_co_u32_e32 v7, vcc, v8, v7, vcc
	s_waitcnt vmcnt(0)
	global_store_dword v[6:7], v5, off
.LBB1_405:                              ;   in Loop: Header=BB1_163 Depth=2
	s_or_b64 exec, exec, s[54:55]
	v_cmp_gt_i32_e32 vcc, 0, v11
	s_waitcnt vmcnt(0)
	v_cndmask_b32_e64 v5, v61, 0, vcc
	v_xor_b32_e32 v8, v5, v11
	v_add_u32_e32 v28, 3, v4
	v_cmp_ge_u32_e32 vcc, v8, v40
	s_mov_b64 s[56:57], 0
                                        ; implicit-def: $vgpr5
                                        ; implicit-def: $vgpr6_vgpr7
	s_and_saveexec_b64 s[54:55], vcc
	s_xor_b64 s[54:55], exec, s[54:55]
	s_cbranch_execz .LBB1_412
; %bb.406:                              ;   in Loop: Header=BB1_163 Depth=2
	v_cmp_eq_u32_e32 vcc, v8, v40
	s_mov_b64 s[58:59], 0
                                        ; implicit-def: $vgpr5
                                        ; implicit-def: $vgpr6_vgpr7
	s_and_saveexec_b64 s[56:57], vcc
	s_cbranch_execz .LBB1_424
; %bb.407:                              ;   in Loop: Header=BB1_163 Depth=2
	s_mov_b64 s[60:61], exec
	v_mbcnt_lo_u32_b32 v5, s60, 0
	v_mbcnt_hi_u32_b32 v5, s61, v5
	v_cmp_eq_u32_e32 vcc, 0, v5
                                        ; implicit-def: $vgpr6
	s_and_saveexec_b64 s[58:59], vcc
	s_cbranch_execz .LBB1_409
; %bb.408:                              ;   in Loop: Header=BB1_163 Depth=2
	s_bcnt1_i32_b64 s44, s[60:61]
	v_mov_b32_e32 v6, s44
	global_atomic_add v6, v29, v6, s[28:29] offset:512 glc
.LBB1_409:                              ;   in Loop: Header=BB1_163 Depth=2
	s_or_b64 exec, exec, s[58:59]
	s_waitcnt vmcnt(0)
	v_readfirstlane_b32 s44, v6
	v_add_u32_e32 v8, s44, v5
	v_cmp_lt_i32_e32 vcc, v8, v41
	s_mov_b64 s[60:61], 0
                                        ; implicit-def: $vgpr5
                                        ; implicit-def: $vgpr6_vgpr7
	s_and_saveexec_b64 s[58:59], vcc
	s_cbranch_execz .LBB1_423
; %bb.410:                              ;   in Loop: Header=BB1_163 Depth=2
	v_xad_u32 v6, v8, -1, s73
	v_ashrrev_i32_e32 v7, 31, v6
	v_lshlrev_b64 v[8:9], 2, v[6:7]
	v_mov_b32_e32 v5, s64
	v_add_co_u32_e32 v8, vcc, s63, v8
	v_addc_co_u32_e32 v9, vcc, v5, v9, vcc
	s_andn2_b64 vcc, exec, s[6:7]
	global_store_dword v[8:9], v11, off
	s_cbranch_vccnz .LBB1_420
; %bb.411:                              ;   in Loop: Header=BB1_163 Depth=2
	v_ashrrev_i32_e32 v5, 31, v4
	v_lshlrev_b64 v[4:5], 2, v[4:5]
	v_mov_b32_e32 v8, s69
	v_add_co_u32_e32 v4, vcc, s68, v4
	v_addc_co_u32_e32 v5, vcc, v8, v5, vcc
	global_load_dword v5, v[4:5], off
	s_andn2_b64 vcc, exec, s[60:61]
	s_cbranch_vccz .LBB1_421
	s_branch .LBB1_422
.LBB1_412:                              ;   in Loop: Header=BB1_163 Depth=2
	s_andn2_saveexec_b64 s[54:55], s[54:55]
	s_cbranch_execz .LBB1_425
.LBB1_413:                              ;   in Loop: Header=BB1_163 Depth=2
	s_mov_b64 s[60:61], exec
	s_waitcnt vmcnt(0)
	v_mbcnt_lo_u32_b32 v5, s60, 0
	v_mbcnt_hi_u32_b32 v5, s61, v5
	v_cmp_eq_u32_e32 vcc, 0, v5
                                        ; implicit-def: $vgpr6
	s_and_saveexec_b64 s[58:59], vcc
	s_cbranch_execz .LBB1_415
; %bb.414:                              ;   in Loop: Header=BB1_163 Depth=2
	s_bcnt1_i32_b64 s44, s[60:61]
	v_mov_b32_e32 v6, s44
	global_atomic_add v6, v29, v6, s[28:29] offset:384 glc
.LBB1_415:                              ;   in Loop: Header=BB1_163 Depth=2
	s_or_b64 exec, exec, s[58:59]
	s_waitcnt vmcnt(0)
	v_readfirstlane_b32 s44, v6
	v_add_u32_e32 v6, s44, v5
	v_ashrrev_i32_e32 v7, 31, v6
	v_lshlrev_b64 v[8:9], 2, v[6:7]
	v_mov_b32_e32 v5, s64
	v_add_co_u32_e32 v8, vcc, s63, v8
	v_addc_co_u32_e32 v9, vcc, v5, v9, vcc
	s_andn2_b64 vcc, exec, s[6:7]
	global_store_dword v[8:9], v11, off
	s_cbranch_vccnz .LBB1_417
; %bb.416:                              ;   in Loop: Header=BB1_163 Depth=2
	v_ashrrev_i32_e32 v5, 31, v4
	v_lshlrev_b64 v[4:5], 2, v[4:5]
	v_mov_b32_e32 v8, s69
	v_add_co_u32_e32 v4, vcc, s68, v4
	v_addc_co_u32_e32 v5, vcc, v8, v5, vcc
	global_load_dword v5, v[4:5], off
	s_cbranch_execz .LBB1_418
	s_branch .LBB1_419
.LBB1_417:                              ;   in Loop: Header=BB1_163 Depth=2
                                        ; implicit-def: $vgpr5
.LBB1_418:                              ;   in Loop: Header=BB1_163 Depth=2
	s_waitcnt vmcnt(0)
	v_add_u32_e32 v5, s25, v28
.LBB1_419:                              ;   in Loop: Header=BB1_163 Depth=2
	s_or_b64 s[56:57], s[56:57], exec
	s_or_b64 exec, exec, s[54:55]
	s_and_saveexec_b64 s[54:55], s[56:57]
	s_cbranch_execnz .LBB1_426
	s_branch .LBB1_427
.LBB1_420:                              ;   in Loop: Header=BB1_163 Depth=2
                                        ; implicit-def: $vgpr5
.LBB1_421:                              ;   in Loop: Header=BB1_163 Depth=2
	s_waitcnt vmcnt(0)
	v_add_u32_e32 v5, s25, v28
.LBB1_422:                              ;   in Loop: Header=BB1_163 Depth=2
	s_mov_b64 s[60:61], exec
.LBB1_423:                              ;   in Loop: Header=BB1_163 Depth=2
	s_or_b64 exec, exec, s[58:59]
	s_and_b64 s[58:59], s[60:61], exec
.LBB1_424:                              ;   in Loop: Header=BB1_163 Depth=2
	s_or_b64 exec, exec, s[56:57]
	s_and_b64 s[56:57], s[58:59], exec
                                        ; implicit-def: $vgpr28
                                        ; implicit-def: $vgpr4
                                        ; implicit-def: $vgpr8_vgpr9_vgpr10_vgpr11
	s_andn2_saveexec_b64 s[54:55], s[54:55]
	s_cbranch_execnz .LBB1_413
.LBB1_425:                              ;   in Loop: Header=BB1_163 Depth=2
	s_or_b64 exec, exec, s[54:55]
	s_and_saveexec_b64 s[54:55], s[56:57]
	s_cbranch_execz .LBB1_427
.LBB1_426:                              ;   in Loop: Header=BB1_163 Depth=2
	v_lshlrev_b64 v[6:7], 2, v[6:7]
	v_mov_b32_e32 v4, s62
	v_add_co_u32_e32 v6, vcc, s33, v6
	v_addc_co_u32_e32 v7, vcc, v4, v7, vcc
	s_waitcnt vmcnt(0)
	global_store_dword v[6:7], v5, off
.LBB1_427:                              ;   in Loop: Header=BB1_163 Depth=2
	s_or_b64 exec, exec, s[54:55]
	v_cmp_gt_i32_e32 vcc, 0, v0
	s_waitcnt vmcnt(0)
	v_cndmask_b32_e64 v5, v61, 0, vcc
	v_xor_b32_e32 v8, v5, v0
	v_lshl_add_u32 v4, v44, 2, s36
	v_cmp_ge_u32_e32 vcc, v8, v40
	s_mov_b64 s[56:57], 0
                                        ; implicit-def: $vgpr5
                                        ; implicit-def: $vgpr6_vgpr7
	s_and_saveexec_b64 s[54:55], vcc
	s_xor_b64 s[54:55], exec, s[54:55]
	s_cbranch_execz .LBB1_434
; %bb.428:                              ;   in Loop: Header=BB1_163 Depth=2
	v_cmp_eq_u32_e32 vcc, v8, v40
	s_mov_b64 s[58:59], 0
                                        ; implicit-def: $vgpr5
                                        ; implicit-def: $vgpr6_vgpr7
	s_and_saveexec_b64 s[56:57], vcc
	s_cbranch_execz .LBB1_446
; %bb.429:                              ;   in Loop: Header=BB1_163 Depth=2
	s_mov_b64 s[60:61], exec
	v_mbcnt_lo_u32_b32 v5, s60, 0
	v_mbcnt_hi_u32_b32 v5, s61, v5
	v_cmp_eq_u32_e32 vcc, 0, v5
                                        ; implicit-def: $vgpr6
	s_and_saveexec_b64 s[58:59], vcc
	s_cbranch_execz .LBB1_431
; %bb.430:                              ;   in Loop: Header=BB1_163 Depth=2
	s_bcnt1_i32_b64 s44, s[60:61]
	v_mov_b32_e32 v6, s44
	global_atomic_add v6, v29, v6, s[28:29] offset:512 glc
.LBB1_431:                              ;   in Loop: Header=BB1_163 Depth=2
	s_or_b64 exec, exec, s[58:59]
	s_waitcnt vmcnt(0)
	v_readfirstlane_b32 s44, v6
	v_add_u32_e32 v8, s44, v5
	v_cmp_lt_i32_e32 vcc, v8, v41
	s_mov_b64 s[60:61], 0
                                        ; implicit-def: $vgpr5
                                        ; implicit-def: $vgpr6_vgpr7
	s_and_saveexec_b64 s[58:59], vcc
	s_xor_b64 s[58:59], exec, s[58:59]
	s_cbranch_execz .LBB1_445
; %bb.432:                              ;   in Loop: Header=BB1_163 Depth=2
	v_xad_u32 v6, v8, -1, s73
	v_ashrrev_i32_e32 v7, 31, v6
	v_lshlrev_b64 v[8:9], 2, v[6:7]
	v_mov_b32_e32 v5, s64
	v_add_co_u32_e32 v8, vcc, s63, v8
	v_addc_co_u32_e32 v9, vcc, v5, v9, vcc
	s_andn2_b64 vcc, exec, s[6:7]
	global_store_dword v[8:9], v0, off
	s_cbranch_vccnz .LBB1_442
; %bb.433:                              ;   in Loop: Header=BB1_163 Depth=2
	v_ashrrev_i32_e32 v5, 31, v4
	v_lshlrev_b64 v[8:9], 2, v[4:5]
	v_mov_b32_e32 v5, s27
	v_add_co_u32_e32 v8, vcc, s26, v8
	v_addc_co_u32_e32 v9, vcc, v5, v9, vcc
	global_load_dword v5, v[8:9], off
	s_andn2_b64 vcc, exec, s[60:61]
	s_cbranch_vccz .LBB1_443
	s_branch .LBB1_444
.LBB1_434:                              ;   in Loop: Header=BB1_163 Depth=2
	s_andn2_saveexec_b64 s[54:55], s[54:55]
	s_cbranch_execz .LBB1_447
.LBB1_435:                              ;   in Loop: Header=BB1_163 Depth=2
	s_mov_b64 s[60:61], exec
	s_waitcnt vmcnt(0)
	v_mbcnt_lo_u32_b32 v5, s60, 0
	v_mbcnt_hi_u32_b32 v5, s61, v5
	v_cmp_eq_u32_e32 vcc, 0, v5
                                        ; implicit-def: $vgpr6
	s_and_saveexec_b64 s[58:59], vcc
	s_cbranch_execz .LBB1_437
; %bb.436:                              ;   in Loop: Header=BB1_163 Depth=2
	s_bcnt1_i32_b64 s44, s[60:61]
	v_mov_b32_e32 v6, s44
	global_atomic_add v6, v29, v6, s[28:29] offset:384 glc
.LBB1_437:                              ;   in Loop: Header=BB1_163 Depth=2
	s_or_b64 exec, exec, s[58:59]
	s_waitcnt vmcnt(0)
	v_readfirstlane_b32 s44, v6
	v_add_u32_e32 v6, s44, v5
	v_ashrrev_i32_e32 v7, 31, v6
	v_lshlrev_b64 v[8:9], 2, v[6:7]
	v_mov_b32_e32 v5, s64
	v_add_co_u32_e32 v8, vcc, s63, v8
	v_addc_co_u32_e32 v9, vcc, v5, v9, vcc
	s_andn2_b64 vcc, exec, s[6:7]
	global_store_dword v[8:9], v0, off
	s_cbranch_vccnz .LBB1_439
; %bb.438:                              ;   in Loop: Header=BB1_163 Depth=2
	v_ashrrev_i32_e32 v5, 31, v4
	v_lshlrev_b64 v[8:9], 2, v[4:5]
	v_mov_b32_e32 v0, s27
	v_add_co_u32_e32 v8, vcc, s26, v8
	v_addc_co_u32_e32 v9, vcc, v0, v9, vcc
	global_load_dword v5, v[8:9], off
	s_cbranch_execz .LBB1_440
	s_branch .LBB1_441
.LBB1_439:                              ;   in Loop: Header=BB1_163 Depth=2
                                        ; implicit-def: $vgpr5
.LBB1_440:                              ;   in Loop: Header=BB1_163 Depth=2
	s_waitcnt vmcnt(0)
	v_add_u32_e32 v5, s25, v4
.LBB1_441:                              ;   in Loop: Header=BB1_163 Depth=2
	s_or_b64 s[56:57], s[56:57], exec
	s_or_b64 exec, exec, s[54:55]
	s_and_saveexec_b64 s[54:55], s[56:57]
	s_cbranch_execnz .LBB1_448
	s_branch .LBB1_449
.LBB1_442:                              ;   in Loop: Header=BB1_163 Depth=2
                                        ; implicit-def: $vgpr5
.LBB1_443:                              ;   in Loop: Header=BB1_163 Depth=2
	s_waitcnt vmcnt(0)
	v_add_u32_e32 v5, s25, v4
.LBB1_444:                              ;   in Loop: Header=BB1_163 Depth=2
	s_mov_b64 s[60:61], exec
.LBB1_445:                              ;   in Loop: Header=BB1_163 Depth=2
	s_or_b64 exec, exec, s[58:59]
	s_and_b64 s[58:59], s[60:61], exec
.LBB1_446:                              ;   in Loop: Header=BB1_163 Depth=2
	s_or_b64 exec, exec, s[56:57]
	s_and_b64 s[56:57], s[58:59], exec
	s_andn2_saveexec_b64 s[54:55], s[54:55]
	s_cbranch_execnz .LBB1_435
.LBB1_447:                              ;   in Loop: Header=BB1_163 Depth=2
	s_or_b64 exec, exec, s[54:55]
	s_and_saveexec_b64 s[54:55], s[56:57]
	s_cbranch_execz .LBB1_449
.LBB1_448:                              ;   in Loop: Header=BB1_163 Depth=2
	v_lshlrev_b64 v[6:7], 2, v[6:7]
	v_mov_b32_e32 v0, s62
	v_add_co_u32_e32 v6, vcc, s33, v6
	v_addc_co_u32_e32 v7, vcc, v0, v7, vcc
	s_waitcnt vmcnt(0)
	global_store_dword v[6:7], v5, off
.LBB1_449:                              ;   in Loop: Header=BB1_163 Depth=2
	s_or_b64 exec, exec, s[54:55]
	v_cmp_gt_i32_e32 vcc, 0, v1
	s_waitcnt vmcnt(0)
	v_cndmask_b32_e64 v5, v61, 0, vcc
	v_xor_b32_e32 v8, v5, v1
	v_add_u32_e32 v0, 1, v4
	v_cmp_ge_u32_e32 vcc, v8, v40
	s_mov_b64 s[56:57], 0
                                        ; implicit-def: $vgpr5
                                        ; implicit-def: $vgpr6_vgpr7
	s_and_saveexec_b64 s[54:55], vcc
	s_xor_b64 s[54:55], exec, s[54:55]
	s_cbranch_execz .LBB1_456
; %bb.450:                              ;   in Loop: Header=BB1_163 Depth=2
	v_cmp_eq_u32_e32 vcc, v8, v40
	s_mov_b64 s[58:59], 0
                                        ; implicit-def: $vgpr5
                                        ; implicit-def: $vgpr6_vgpr7
	s_and_saveexec_b64 s[56:57], vcc
	s_cbranch_execz .LBB1_468
; %bb.451:                              ;   in Loop: Header=BB1_163 Depth=2
	s_mov_b64 s[60:61], exec
	v_mbcnt_lo_u32_b32 v5, s60, 0
	v_mbcnt_hi_u32_b32 v5, s61, v5
	v_cmp_eq_u32_e32 vcc, 0, v5
                                        ; implicit-def: $vgpr6
	s_and_saveexec_b64 s[58:59], vcc
	s_cbranch_execz .LBB1_453
; %bb.452:                              ;   in Loop: Header=BB1_163 Depth=2
	s_bcnt1_i32_b64 s44, s[60:61]
	v_mov_b32_e32 v6, s44
	global_atomic_add v6, v29, v6, s[28:29] offset:512 glc
.LBB1_453:                              ;   in Loop: Header=BB1_163 Depth=2
	s_or_b64 exec, exec, s[58:59]
	s_waitcnt vmcnt(0)
	v_readfirstlane_b32 s44, v6
	v_add_u32_e32 v8, s44, v5
	v_cmp_lt_i32_e32 vcc, v8, v41
	s_mov_b64 s[60:61], 0
                                        ; implicit-def: $vgpr5
                                        ; implicit-def: $vgpr6_vgpr7
	s_and_saveexec_b64 s[58:59], vcc
	s_cbranch_execz .LBB1_467
; %bb.454:                              ;   in Loop: Header=BB1_163 Depth=2
	v_xad_u32 v6, v8, -1, s73
	v_ashrrev_i32_e32 v7, 31, v6
	v_lshlrev_b64 v[8:9], 2, v[6:7]
	v_mov_b32_e32 v5, s64
	v_add_co_u32_e32 v8, vcc, s63, v8
	v_addc_co_u32_e32 v9, vcc, v5, v9, vcc
	s_andn2_b64 vcc, exec, s[6:7]
	global_store_dword v[8:9], v1, off
	s_cbranch_vccnz .LBB1_464
; %bb.455:                              ;   in Loop: Header=BB1_163 Depth=2
	v_ashrrev_i32_e32 v5, 31, v4
	v_lshlrev_b64 v[8:9], 2, v[4:5]
	v_mov_b32_e32 v5, s37
	v_add_co_u32_e32 v8, vcc, s31, v8
	v_addc_co_u32_e32 v9, vcc, v5, v9, vcc
	global_load_dword v5, v[8:9], off
	s_andn2_b64 vcc, exec, s[60:61]
	s_cbranch_vccz .LBB1_465
	s_branch .LBB1_466
.LBB1_456:                              ;   in Loop: Header=BB1_163 Depth=2
	s_andn2_saveexec_b64 s[54:55], s[54:55]
	s_cbranch_execz .LBB1_469
.LBB1_457:                              ;   in Loop: Header=BB1_163 Depth=2
	s_mov_b64 s[60:61], exec
	s_waitcnt vmcnt(0)
	v_mbcnt_lo_u32_b32 v5, s60, 0
	v_mbcnt_hi_u32_b32 v5, s61, v5
	v_cmp_eq_u32_e32 vcc, 0, v5
                                        ; implicit-def: $vgpr6
	s_and_saveexec_b64 s[58:59], vcc
	s_cbranch_execz .LBB1_459
; %bb.458:                              ;   in Loop: Header=BB1_163 Depth=2
	s_bcnt1_i32_b64 s44, s[60:61]
	v_mov_b32_e32 v6, s44
	global_atomic_add v6, v29, v6, s[28:29] offset:384 glc
.LBB1_459:                              ;   in Loop: Header=BB1_163 Depth=2
	s_or_b64 exec, exec, s[58:59]
	s_waitcnt vmcnt(0)
	v_readfirstlane_b32 s44, v6
	v_add_u32_e32 v6, s44, v5
	v_ashrrev_i32_e32 v7, 31, v6
	v_lshlrev_b64 v[8:9], 2, v[6:7]
	v_mov_b32_e32 v5, s64
	v_add_co_u32_e32 v8, vcc, s63, v8
	v_addc_co_u32_e32 v9, vcc, v5, v9, vcc
	s_andn2_b64 vcc, exec, s[6:7]
	global_store_dword v[8:9], v1, off
	s_cbranch_vccnz .LBB1_461
; %bb.460:                              ;   in Loop: Header=BB1_163 Depth=2
	v_ashrrev_i32_e32 v5, 31, v4
	v_lshlrev_b64 v[8:9], 2, v[4:5]
	v_mov_b32_e32 v1, s37
	v_add_co_u32_e32 v8, vcc, s31, v8
	v_addc_co_u32_e32 v9, vcc, v1, v9, vcc
	global_load_dword v5, v[8:9], off
	s_cbranch_execz .LBB1_462
	s_branch .LBB1_463
.LBB1_461:                              ;   in Loop: Header=BB1_163 Depth=2
                                        ; implicit-def: $vgpr5
.LBB1_462:                              ;   in Loop: Header=BB1_163 Depth=2
	s_waitcnt vmcnt(0)
	v_add_u32_e32 v5, s25, v0
.LBB1_463:                              ;   in Loop: Header=BB1_163 Depth=2
	s_or_b64 s[56:57], s[56:57], exec
	s_or_b64 exec, exec, s[54:55]
	s_and_saveexec_b64 s[54:55], s[56:57]
	s_cbranch_execnz .LBB1_470
	s_branch .LBB1_471
.LBB1_464:                              ;   in Loop: Header=BB1_163 Depth=2
                                        ; implicit-def: $vgpr5
.LBB1_465:                              ;   in Loop: Header=BB1_163 Depth=2
	s_waitcnt vmcnt(0)
	v_add_u32_e32 v5, s25, v0
.LBB1_466:                              ;   in Loop: Header=BB1_163 Depth=2
	s_mov_b64 s[60:61], exec
.LBB1_467:                              ;   in Loop: Header=BB1_163 Depth=2
	s_or_b64 exec, exec, s[58:59]
	s_and_b64 s[58:59], s[60:61], exec
.LBB1_468:                              ;   in Loop: Header=BB1_163 Depth=2
	s_or_b64 exec, exec, s[56:57]
	s_and_b64 s[56:57], s[58:59], exec
                                        ; implicit-def: $vgpr0
	s_andn2_saveexec_b64 s[54:55], s[54:55]
	s_cbranch_execnz .LBB1_457
.LBB1_469:                              ;   in Loop: Header=BB1_163 Depth=2
	s_or_b64 exec, exec, s[54:55]
	s_and_saveexec_b64 s[54:55], s[56:57]
	s_cbranch_execz .LBB1_471
.LBB1_470:                              ;   in Loop: Header=BB1_163 Depth=2
	v_lshlrev_b64 v[0:1], 2, v[6:7]
	v_mov_b32_e32 v6, s62
	v_add_co_u32_e32 v0, vcc, s33, v0
	v_addc_co_u32_e32 v1, vcc, v6, v1, vcc
	s_waitcnt vmcnt(0)
	global_store_dword v[0:1], v5, off
.LBB1_471:                              ;   in Loop: Header=BB1_163 Depth=2
	s_or_b64 exec, exec, s[54:55]
	v_cmp_gt_i32_e32 vcc, 0, v2
	v_cndmask_b32_e64 v0, v61, 0, vcc
	v_xor_b32_e32 v7, v0, v2
	v_add_u32_e32 v6, 2, v4
	v_cmp_ge_u32_e32 vcc, v7, v40
	s_mov_b64 s[56:57], 0
                                        ; implicit-def: $vgpr5
                                        ; implicit-def: $vgpr0_vgpr1
	s_and_saveexec_b64 s[54:55], vcc
	s_xor_b64 s[54:55], exec, s[54:55]
	s_cbranch_execz .LBB1_478
; %bb.472:                              ;   in Loop: Header=BB1_163 Depth=2
	v_cmp_eq_u32_e32 vcc, v7, v40
	s_mov_b64 s[58:59], 0
                                        ; implicit-def: $vgpr5
                                        ; implicit-def: $vgpr0_vgpr1
	s_and_saveexec_b64 s[56:57], vcc
	s_cbranch_execz .LBB1_490
; %bb.473:                              ;   in Loop: Header=BB1_163 Depth=2
	s_mov_b64 s[60:61], exec
	v_mbcnt_lo_u32_b32 v0, s60, 0
	v_mbcnt_hi_u32_b32 v0, s61, v0
	v_cmp_eq_u32_e32 vcc, 0, v0
                                        ; implicit-def: $vgpr1
	s_and_saveexec_b64 s[58:59], vcc
	s_cbranch_execz .LBB1_475
; %bb.474:                              ;   in Loop: Header=BB1_163 Depth=2
	s_bcnt1_i32_b64 s44, s[60:61]
	v_mov_b32_e32 v1, s44
	global_atomic_add v1, v29, v1, s[28:29] offset:512 glc
.LBB1_475:                              ;   in Loop: Header=BB1_163 Depth=2
	s_or_b64 exec, exec, s[58:59]
	s_waitcnt vmcnt(0)
	v_readfirstlane_b32 s44, v1
	v_add_u32_e32 v7, s44, v0
	v_cmp_lt_i32_e32 vcc, v7, v41
	s_mov_b64 s[60:61], 0
                                        ; implicit-def: $vgpr5
                                        ; implicit-def: $vgpr0_vgpr1
	s_and_saveexec_b64 s[58:59], vcc
	s_cbranch_execz .LBB1_489
; %bb.476:                              ;   in Loop: Header=BB1_163 Depth=2
	v_xad_u32 v0, v7, -1, s73
	v_ashrrev_i32_e32 v1, 31, v0
	v_lshlrev_b64 v[8:9], 2, v[0:1]
	v_mov_b32_e32 v5, s64
	v_add_co_u32_e32 v8, vcc, s63, v8
	v_addc_co_u32_e32 v9, vcc, v5, v9, vcc
	s_andn2_b64 vcc, exec, s[6:7]
	global_store_dword v[8:9], v2, off
	s_cbranch_vccnz .LBB1_486
; %bb.477:                              ;   in Loop: Header=BB1_163 Depth=2
	v_ashrrev_i32_e32 v5, 31, v4
	v_lshlrev_b64 v[8:9], 2, v[4:5]
	v_mov_b32_e32 v5, s67
	v_add_co_u32_e32 v8, vcc, s66, v8
	v_addc_co_u32_e32 v9, vcc, v5, v9, vcc
	global_load_dword v5, v[8:9], off
	s_andn2_b64 vcc, exec, s[60:61]
	s_cbranch_vccz .LBB1_487
	s_branch .LBB1_488
.LBB1_478:                              ;   in Loop: Header=BB1_163 Depth=2
	s_andn2_saveexec_b64 s[54:55], s[54:55]
	s_cbranch_execz .LBB1_491
.LBB1_479:                              ;   in Loop: Header=BB1_163 Depth=2
	s_mov_b64 s[60:61], exec
	v_mbcnt_lo_u32_b32 v0, s60, 0
	v_mbcnt_hi_u32_b32 v0, s61, v0
	v_cmp_eq_u32_e32 vcc, 0, v0
                                        ; implicit-def: $vgpr1
	s_and_saveexec_b64 s[58:59], vcc
	s_cbranch_execz .LBB1_481
; %bb.480:                              ;   in Loop: Header=BB1_163 Depth=2
	s_bcnt1_i32_b64 s44, s[60:61]
	v_mov_b32_e32 v1, s44
	global_atomic_add v1, v29, v1, s[28:29] offset:384 glc
.LBB1_481:                              ;   in Loop: Header=BB1_163 Depth=2
	s_or_b64 exec, exec, s[58:59]
	s_waitcnt vmcnt(0)
	v_readfirstlane_b32 s44, v1
	v_add_u32_e32 v0, s44, v0
	v_ashrrev_i32_e32 v1, 31, v0
	v_lshlrev_b64 v[8:9], 2, v[0:1]
	v_mov_b32_e32 v5, s64
	v_add_co_u32_e32 v8, vcc, s63, v8
	v_addc_co_u32_e32 v9, vcc, v5, v9, vcc
	s_andn2_b64 vcc, exec, s[6:7]
	global_store_dword v[8:9], v2, off
	s_cbranch_vccnz .LBB1_483
; %bb.482:                              ;   in Loop: Header=BB1_163 Depth=2
	v_ashrrev_i32_e32 v5, 31, v4
	v_lshlrev_b64 v[8:9], 2, v[4:5]
	v_mov_b32_e32 v2, s67
	v_add_co_u32_e32 v8, vcc, s66, v8
	v_addc_co_u32_e32 v9, vcc, v2, v9, vcc
	global_load_dword v5, v[8:9], off
	s_cbranch_execz .LBB1_484
	s_branch .LBB1_485
.LBB1_483:                              ;   in Loop: Header=BB1_163 Depth=2
                                        ; implicit-def: $vgpr5
.LBB1_484:                              ;   in Loop: Header=BB1_163 Depth=2
	s_waitcnt vmcnt(0)
	v_add_u32_e32 v5, s25, v6
.LBB1_485:                              ;   in Loop: Header=BB1_163 Depth=2
	s_or_b64 s[56:57], s[56:57], exec
	s_or_b64 exec, exec, s[54:55]
	s_and_saveexec_b64 s[54:55], s[56:57]
	s_cbranch_execnz .LBB1_492
	s_branch .LBB1_493
.LBB1_486:                              ;   in Loop: Header=BB1_163 Depth=2
                                        ; implicit-def: $vgpr5
.LBB1_487:                              ;   in Loop: Header=BB1_163 Depth=2
	s_waitcnt vmcnt(0)
	v_add_u32_e32 v5, s25, v6
.LBB1_488:                              ;   in Loop: Header=BB1_163 Depth=2
	s_mov_b64 s[60:61], exec
.LBB1_489:                              ;   in Loop: Header=BB1_163 Depth=2
	s_or_b64 exec, exec, s[58:59]
	s_and_b64 s[58:59], s[60:61], exec
.LBB1_490:                              ;   in Loop: Header=BB1_163 Depth=2
	s_or_b64 exec, exec, s[56:57]
	s_and_b64 s[56:57], s[58:59], exec
                                        ; implicit-def: $vgpr6
	s_andn2_saveexec_b64 s[54:55], s[54:55]
	s_cbranch_execnz .LBB1_479
.LBB1_491:                              ;   in Loop: Header=BB1_163 Depth=2
	s_or_b64 exec, exec, s[54:55]
	s_and_saveexec_b64 s[54:55], s[56:57]
	s_cbranch_execz .LBB1_493
.LBB1_492:                              ;   in Loop: Header=BB1_163 Depth=2
	v_lshlrev_b64 v[0:1], 2, v[0:1]
	v_mov_b32_e32 v2, s62
	v_add_co_u32_e32 v0, vcc, s33, v0
	v_addc_co_u32_e32 v1, vcc, v2, v1, vcc
	s_waitcnt vmcnt(0)
	global_store_dword v[0:1], v5, off
.LBB1_493:                              ;   in Loop: Header=BB1_163 Depth=2
	s_or_b64 exec, exec, s[54:55]
	v_cmp_gt_i32_e32 vcc, 0, v3
	v_cndmask_b32_e64 v0, v61, 0, vcc
	v_xor_b32_e32 v0, v0, v3
	v_add_u32_e32 v8, 3, v4
	v_cmp_ge_u32_e32 vcc, v0, v40
	s_mov_b64 s[56:57], 0
                                        ; implicit-def: $vgpr5
                                        ; implicit-def: $vgpr6_vgpr7
	s_and_saveexec_b64 s[54:55], vcc
	s_xor_b64 s[54:55], exec, s[54:55]
	s_cbranch_execz .LBB1_500
; %bb.494:                              ;   in Loop: Header=BB1_163 Depth=2
	v_cmp_eq_u32_e32 vcc, v0, v40
	s_mov_b64 s[58:59], 0
                                        ; implicit-def: $vgpr5
                                        ; implicit-def: $vgpr6_vgpr7
	s_and_saveexec_b64 s[56:57], vcc
	s_cbranch_execz .LBB1_512
; %bb.495:                              ;   in Loop: Header=BB1_163 Depth=2
	s_mov_b64 s[60:61], exec
	v_mbcnt_lo_u32_b32 v0, s60, 0
	v_mbcnt_hi_u32_b32 v0, s61, v0
	v_cmp_eq_u32_e32 vcc, 0, v0
                                        ; implicit-def: $vgpr1
	s_and_saveexec_b64 s[58:59], vcc
	s_cbranch_execz .LBB1_497
; %bb.496:                              ;   in Loop: Header=BB1_163 Depth=2
	s_bcnt1_i32_b64 s44, s[60:61]
	v_mov_b32_e32 v1, s44
	global_atomic_add v1, v29, v1, s[28:29] offset:512 glc
.LBB1_497:                              ;   in Loop: Header=BB1_163 Depth=2
	s_or_b64 exec, exec, s[58:59]
	s_waitcnt vmcnt(0)
	v_readfirstlane_b32 s44, v1
	v_add_u32_e32 v0, s44, v0
	v_cmp_lt_i32_e32 vcc, v0, v41
	s_mov_b64 s[60:61], 0
                                        ; implicit-def: $vgpr5
                                        ; implicit-def: $vgpr6_vgpr7
	s_and_saveexec_b64 s[58:59], vcc
	s_cbranch_execz .LBB1_511
; %bb.498:                              ;   in Loop: Header=BB1_163 Depth=2
	v_xad_u32 v6, v0, -1, s73
	v_ashrrev_i32_e32 v7, 31, v6
	v_lshlrev_b64 v[0:1], 2, v[6:7]
	v_mov_b32_e32 v2, s64
	v_add_co_u32_e32 v0, vcc, s63, v0
	v_addc_co_u32_e32 v1, vcc, v2, v1, vcc
	s_andn2_b64 vcc, exec, s[6:7]
	global_store_dword v[0:1], v3, off
	s_cbranch_vccnz .LBB1_508
; %bb.499:                              ;   in Loop: Header=BB1_163 Depth=2
	v_ashrrev_i32_e32 v5, 31, v4
	v_lshlrev_b64 v[0:1], 2, v[4:5]
	v_mov_b32_e32 v2, s69
	v_add_co_u32_e32 v0, vcc, s68, v0
	v_addc_co_u32_e32 v1, vcc, v2, v1, vcc
	global_load_dword v5, v[0:1], off
	s_andn2_b64 vcc, exec, s[60:61]
	s_cbranch_vccz .LBB1_509
	s_branch .LBB1_510
.LBB1_500:                              ;   in Loop: Header=BB1_163 Depth=2
	s_andn2_saveexec_b64 s[54:55], s[54:55]
	s_cbranch_execz .LBB1_513
.LBB1_501:                              ;   in Loop: Header=BB1_163 Depth=2
	s_mov_b64 s[60:61], exec
	v_mbcnt_lo_u32_b32 v0, s60, 0
	v_mbcnt_hi_u32_b32 v0, s61, v0
	v_cmp_eq_u32_e32 vcc, 0, v0
                                        ; implicit-def: $vgpr1
	s_and_saveexec_b64 s[58:59], vcc
	s_cbranch_execz .LBB1_503
; %bb.502:                              ;   in Loop: Header=BB1_163 Depth=2
	s_bcnt1_i32_b64 s44, s[60:61]
	v_mov_b32_e32 v1, s44
	global_atomic_add v1, v29, v1, s[28:29] offset:384 glc
.LBB1_503:                              ;   in Loop: Header=BB1_163 Depth=2
	s_or_b64 exec, exec, s[58:59]
	s_waitcnt vmcnt(0)
	v_readfirstlane_b32 s44, v1
	v_add_u32_e32 v6, s44, v0
	v_ashrrev_i32_e32 v7, 31, v6
	v_lshlrev_b64 v[0:1], 2, v[6:7]
	v_mov_b32_e32 v2, s64
	v_add_co_u32_e32 v0, vcc, s63, v0
	v_addc_co_u32_e32 v1, vcc, v2, v1, vcc
	s_andn2_b64 vcc, exec, s[6:7]
	global_store_dword v[0:1], v3, off
	s_cbranch_vccnz .LBB1_505
; %bb.504:                              ;   in Loop: Header=BB1_163 Depth=2
	v_ashrrev_i32_e32 v5, 31, v4
	v_lshlrev_b64 v[0:1], 2, v[4:5]
	v_mov_b32_e32 v2, s69
	v_add_co_u32_e32 v0, vcc, s68, v0
	v_addc_co_u32_e32 v1, vcc, v2, v1, vcc
	global_load_dword v5, v[0:1], off
	s_cbranch_execz .LBB1_506
	s_branch .LBB1_507
.LBB1_505:                              ;   in Loop: Header=BB1_163 Depth=2
                                        ; implicit-def: $vgpr5
.LBB1_506:                              ;   in Loop: Header=BB1_163 Depth=2
	s_waitcnt vmcnt(0)
	v_add_u32_e32 v5, s25, v8
.LBB1_507:                              ;   in Loop: Header=BB1_163 Depth=2
	s_or_b64 s[56:57], s[56:57], exec
	s_or_b64 exec, exec, s[54:55]
	s_and_saveexec_b64 s[54:55], s[56:57]
	s_cbranch_execz .LBB1_162
	s_branch .LBB1_514
.LBB1_508:                              ;   in Loop: Header=BB1_163 Depth=2
                                        ; implicit-def: $vgpr5
.LBB1_509:                              ;   in Loop: Header=BB1_163 Depth=2
	s_waitcnt vmcnt(0)
	v_add_u32_e32 v5, s25, v8
.LBB1_510:                              ;   in Loop: Header=BB1_163 Depth=2
	s_mov_b64 s[60:61], exec
.LBB1_511:                              ;   in Loop: Header=BB1_163 Depth=2
	s_or_b64 exec, exec, s[58:59]
	s_and_b64 s[58:59], s[60:61], exec
.LBB1_512:                              ;   in Loop: Header=BB1_163 Depth=2
	s_or_b64 exec, exec, s[56:57]
	s_and_b64 s[56:57], s[58:59], exec
                                        ; implicit-def: $vgpr8
                                        ; implicit-def: $vgpr4
                                        ; implicit-def: $vgpr0_vgpr1_vgpr2_vgpr3
	s_andn2_saveexec_b64 s[54:55], s[54:55]
	s_cbranch_execnz .LBB1_501
.LBB1_513:                              ;   in Loop: Header=BB1_163 Depth=2
	s_or_b64 exec, exec, s[54:55]
	s_and_saveexec_b64 s[54:55], s[56:57]
	s_cbranch_execz .LBB1_162
.LBB1_514:                              ;   in Loop: Header=BB1_163 Depth=2
	v_lshlrev_b64 v[0:1], 2, v[6:7]
	v_mov_b32_e32 v2, s62
	v_add_co_u32_e32 v0, vcc, s33, v0
	v_addc_co_u32_e32 v1, vcc, v2, v1, vcc
	s_waitcnt vmcnt(0)
	global_store_dword v[0:1], v5, off
	s_branch .LBB1_162
.LBB1_515:                              ;   in Loop: Header=BB1_22 Depth=1
	s_or_b64 exec, exec, s[52:53]
.LBB1_516:                              ;   in Loop: Header=BB1_22 Depth=1
	s_or_b64 exec, exec, s[4:5]
	v_cmp_gt_i32_e32 vcc, s34, v42
	s_and_saveexec_b64 s[4:5], vcc
	s_cbranch_execz .LBB1_607
; %bb.517:                              ;   in Loop: Header=BB1_22 Depth=1
	v_lshl_add_u32 v4, v42, 2, s36
	s_mov_b64 s[52:53], 0
	s_branch .LBB1_519
.LBB1_518:                              ;   in Loop: Header=BB1_519 Depth=2
	s_or_b64 exec, exec, s[54:55]
	v_add_u32_e32 v42, s30, v42
	v_cmp_le_i32_e32 vcc, s34, v42
	s_or_b64 s[52:53], vcc, s[52:53]
	v_add_u32_e32 v4, s65, v4
	s_andn2_b64 exec, exec, s[52:53]
	s_cbranch_execz .LBB1_607
.LBB1_519:                              ;   Parent Loop BB1_22 Depth=1
                                        ; =>  This Inner Loop Header: Depth=2
	v_ashrrev_i32_e32 v43, 31, v42
	v_lshlrev_b64 v[0:1], 4, v[42:43]
	v_mov_b32_e32 v2, s70
	v_add_co_u32_e32 v0, vcc, s24, v0
	v_addc_co_u32_e32 v1, vcc, v2, v1, vcc
	global_load_dwordx4 v[0:3], v[0:1], off
	v_lshl_add_u32 v8, v42, 2, s36
	s_mov_b64 s[56:57], 0
                                        ; implicit-def: $vgpr6_vgpr7
	s_waitcnt vmcnt(0)
	v_cmp_gt_i32_e32 vcc, 0, v0
	v_cndmask_b32_e64 v5, v61, 0, vcc
	v_xor_b32_e32 v9, v5, v0
	s_waitcnt lgkmcnt(0)
	v_cmp_ge_u32_e32 vcc, v9, v40
                                        ; implicit-def: $vgpr5
	s_and_saveexec_b64 s[54:55], vcc
	s_xor_b64 s[54:55], exec, s[54:55]
	s_cbranch_execz .LBB1_526
; %bb.520:                              ;   in Loop: Header=BB1_519 Depth=2
	v_cmp_eq_u32_e32 vcc, v9, v40
	s_mov_b64 s[58:59], 0
                                        ; implicit-def: $vgpr5
                                        ; implicit-def: $vgpr6_vgpr7
	s_and_saveexec_b64 s[56:57], vcc
	s_cbranch_execz .LBB1_538
; %bb.521:                              ;   in Loop: Header=BB1_519 Depth=2
	s_mov_b64 s[60:61], exec
	v_mbcnt_lo_u32_b32 v5, s60, 0
	v_mbcnt_hi_u32_b32 v5, s61, v5
	v_cmp_eq_u32_e32 vcc, 0, v5
                                        ; implicit-def: $vgpr6
	s_and_saveexec_b64 s[58:59], vcc
	s_cbranch_execz .LBB1_523
; %bb.522:                              ;   in Loop: Header=BB1_519 Depth=2
	s_bcnt1_i32_b64 s44, s[60:61]
	v_mov_b32_e32 v6, s44
	global_atomic_add v6, v29, v6, s[28:29] offset:512 glc
.LBB1_523:                              ;   in Loop: Header=BB1_519 Depth=2
	s_or_b64 exec, exec, s[58:59]
	s_waitcnt vmcnt(0)
	v_readfirstlane_b32 s44, v6
	v_add_u32_e32 v9, s44, v5
	v_cmp_lt_i32_e32 vcc, v9, v41
	s_mov_b64 s[60:61], 0
                                        ; implicit-def: $vgpr5
                                        ; implicit-def: $vgpr6_vgpr7
	s_and_saveexec_b64 s[58:59], vcc
	s_xor_b64 s[58:59], exec, s[58:59]
	s_cbranch_execz .LBB1_537
; %bb.524:                              ;   in Loop: Header=BB1_519 Depth=2
	v_xad_u32 v6, v9, -1, s73
	v_ashrrev_i32_e32 v7, 31, v6
	v_lshlrev_b64 v[10:11], 2, v[6:7]
	v_mov_b32_e32 v5, s64
	v_add_co_u32_e32 v10, vcc, s63, v10
	v_addc_co_u32_e32 v11, vcc, v5, v11, vcc
	s_andn2_b64 vcc, exec, s[6:7]
	global_store_dword v[10:11], v0, off
	s_cbranch_vccnz .LBB1_534
; %bb.525:                              ;   in Loop: Header=BB1_519 Depth=2
	v_ashrrev_i32_e32 v5, 31, v4
	v_lshlrev_b64 v[10:11], 2, v[4:5]
	v_mov_b32_e32 v5, s27
	v_add_co_u32_e32 v10, vcc, s26, v10
	v_addc_co_u32_e32 v11, vcc, v5, v11, vcc
	global_load_dword v5, v[10:11], off
	s_andn2_b64 vcc, exec, s[60:61]
	s_cbranch_vccz .LBB1_535
	s_branch .LBB1_536
.LBB1_526:                              ;   in Loop: Header=BB1_519 Depth=2
	s_andn2_saveexec_b64 s[54:55], s[54:55]
	s_cbranch_execz .LBB1_539
.LBB1_527:                              ;   in Loop: Header=BB1_519 Depth=2
	s_mov_b64 s[60:61], exec
	s_waitcnt vmcnt(0)
	v_mbcnt_lo_u32_b32 v5, s60, 0
	v_mbcnt_hi_u32_b32 v5, s61, v5
	v_cmp_eq_u32_e32 vcc, 0, v5
                                        ; implicit-def: $vgpr6
	s_and_saveexec_b64 s[58:59], vcc
	s_cbranch_execz .LBB1_529
; %bb.528:                              ;   in Loop: Header=BB1_519 Depth=2
	s_bcnt1_i32_b64 s44, s[60:61]
	v_mov_b32_e32 v6, s44
	global_atomic_add v6, v29, v6, s[28:29] offset:384 glc
.LBB1_529:                              ;   in Loop: Header=BB1_519 Depth=2
	s_or_b64 exec, exec, s[58:59]
	s_waitcnt vmcnt(0)
	v_readfirstlane_b32 s44, v6
	v_add_u32_e32 v6, s44, v5
	v_ashrrev_i32_e32 v7, 31, v6
	v_lshlrev_b64 v[10:11], 2, v[6:7]
	v_mov_b32_e32 v5, s64
	v_add_co_u32_e32 v10, vcc, s63, v10
	v_addc_co_u32_e32 v11, vcc, v5, v11, vcc
	s_andn2_b64 vcc, exec, s[6:7]
	global_store_dword v[10:11], v0, off
	s_cbranch_vccnz .LBB1_531
; %bb.530:                              ;   in Loop: Header=BB1_519 Depth=2
	v_ashrrev_i32_e32 v5, 31, v4
	v_lshlrev_b64 v[10:11], 2, v[4:5]
	v_mov_b32_e32 v0, s27
	v_add_co_u32_e32 v10, vcc, s26, v10
	v_addc_co_u32_e32 v11, vcc, v0, v11, vcc
	global_load_dword v5, v[10:11], off
	s_cbranch_execz .LBB1_532
	s_branch .LBB1_533
.LBB1_531:                              ;   in Loop: Header=BB1_519 Depth=2
                                        ; implicit-def: $vgpr5
.LBB1_532:                              ;   in Loop: Header=BB1_519 Depth=2
	s_waitcnt vmcnt(0)
	v_add_u32_e32 v5, s25, v4
.LBB1_533:                              ;   in Loop: Header=BB1_519 Depth=2
	s_or_b64 s[56:57], s[56:57], exec
	s_or_b64 exec, exec, s[54:55]
	s_and_saveexec_b64 s[54:55], s[56:57]
	s_cbranch_execnz .LBB1_540
	s_branch .LBB1_541
.LBB1_534:                              ;   in Loop: Header=BB1_519 Depth=2
                                        ; implicit-def: $vgpr5
.LBB1_535:                              ;   in Loop: Header=BB1_519 Depth=2
	s_waitcnt vmcnt(0)
	v_add_u32_e32 v5, s25, v8
.LBB1_536:                              ;   in Loop: Header=BB1_519 Depth=2
	s_mov_b64 s[60:61], exec
.LBB1_537:                              ;   in Loop: Header=BB1_519 Depth=2
	s_or_b64 exec, exec, s[58:59]
	s_and_b64 s[58:59], s[60:61], exec
.LBB1_538:                              ;   in Loop: Header=BB1_519 Depth=2
	s_or_b64 exec, exec, s[56:57]
	s_and_b64 s[56:57], s[58:59], exec
	s_andn2_saveexec_b64 s[54:55], s[54:55]
	s_cbranch_execnz .LBB1_527
.LBB1_539:                              ;   in Loop: Header=BB1_519 Depth=2
	s_or_b64 exec, exec, s[54:55]
	s_and_saveexec_b64 s[54:55], s[56:57]
	s_cbranch_execz .LBB1_541
.LBB1_540:                              ;   in Loop: Header=BB1_519 Depth=2
	v_lshlrev_b64 v[6:7], 2, v[6:7]
	v_mov_b32_e32 v0, s62
	v_add_co_u32_e32 v6, vcc, s33, v6
	v_addc_co_u32_e32 v7, vcc, v0, v7, vcc
	s_waitcnt vmcnt(0)
	global_store_dword v[6:7], v5, off
.LBB1_541:                              ;   in Loop: Header=BB1_519 Depth=2
	s_or_b64 exec, exec, s[54:55]
	v_cmp_gt_i32_e32 vcc, 0, v1
	v_cndmask_b32_e64 v0, v61, 0, vcc
	s_waitcnt vmcnt(0)
	v_xor_b32_e32 v5, v0, v1
	v_cmp_ge_u32_e32 vcc, v5, v40
	s_mov_b64 s[56:57], 0
                                        ; implicit-def: $vgpr0
                                        ; implicit-def: $vgpr6_vgpr7
	s_and_saveexec_b64 s[54:55], vcc
	s_xor_b64 s[54:55], exec, s[54:55]
	s_cbranch_execz .LBB1_548
; %bb.542:                              ;   in Loop: Header=BB1_519 Depth=2
	v_cmp_eq_u32_e32 vcc, v5, v40
	s_mov_b64 s[58:59], 0
                                        ; implicit-def: $vgpr0
                                        ; implicit-def: $vgpr6_vgpr7
	s_and_saveexec_b64 s[56:57], vcc
	s_cbranch_execz .LBB1_560
; %bb.543:                              ;   in Loop: Header=BB1_519 Depth=2
	s_mov_b64 s[60:61], exec
	v_mbcnt_lo_u32_b32 v0, s60, 0
	v_mbcnt_hi_u32_b32 v0, s61, v0
	v_cmp_eq_u32_e32 vcc, 0, v0
                                        ; implicit-def: $vgpr5
	s_and_saveexec_b64 s[58:59], vcc
	s_cbranch_execz .LBB1_545
; %bb.544:                              ;   in Loop: Header=BB1_519 Depth=2
	s_bcnt1_i32_b64 s44, s[60:61]
	v_mov_b32_e32 v5, s44
	global_atomic_add v5, v29, v5, s[28:29] offset:512 glc
.LBB1_545:                              ;   in Loop: Header=BB1_519 Depth=2
	s_or_b64 exec, exec, s[58:59]
	s_waitcnt vmcnt(0)
	v_readfirstlane_b32 s44, v5
	v_add_u32_e32 v5, s44, v0
	v_cmp_lt_i32_e32 vcc, v5, v41
	s_mov_b64 s[60:61], 0
                                        ; implicit-def: $vgpr0
                                        ; implicit-def: $vgpr6_vgpr7
	s_and_saveexec_b64 s[58:59], vcc
	s_cbranch_execz .LBB1_559
; %bb.546:                              ;   in Loop: Header=BB1_519 Depth=2
	v_xad_u32 v6, v5, -1, s73
	v_ashrrev_i32_e32 v7, 31, v6
	v_lshlrev_b64 v[10:11], 2, v[6:7]
	v_mov_b32_e32 v0, s64
	v_add_co_u32_e32 v10, vcc, s63, v10
	v_addc_co_u32_e32 v11, vcc, v0, v11, vcc
	s_andn2_b64 vcc, exec, s[6:7]
	global_store_dword v[10:11], v1, off
	s_cbranch_vccnz .LBB1_556
; %bb.547:                              ;   in Loop: Header=BB1_519 Depth=2
	v_ashrrev_i32_e32 v5, 31, v4
	v_lshlrev_b64 v[10:11], 2, v[4:5]
	v_mov_b32_e32 v0, s37
	v_add_co_u32_e32 v10, vcc, s31, v10
	v_addc_co_u32_e32 v11, vcc, v0, v11, vcc
	global_load_dword v0, v[10:11], off
	s_andn2_b64 vcc, exec, s[60:61]
	s_cbranch_vccz .LBB1_557
	s_branch .LBB1_558
.LBB1_548:                              ;   in Loop: Header=BB1_519 Depth=2
	s_andn2_saveexec_b64 s[54:55], s[54:55]
	s_cbranch_execz .LBB1_561
.LBB1_549:                              ;   in Loop: Header=BB1_519 Depth=2
	s_mov_b64 s[60:61], exec
	s_waitcnt vmcnt(0)
	v_mbcnt_lo_u32_b32 v0, s60, 0
	v_mbcnt_hi_u32_b32 v0, s61, v0
	v_cmp_eq_u32_e32 vcc, 0, v0
                                        ; implicit-def: $vgpr5
	s_and_saveexec_b64 s[58:59], vcc
	s_cbranch_execz .LBB1_551
; %bb.550:                              ;   in Loop: Header=BB1_519 Depth=2
	s_bcnt1_i32_b64 s44, s[60:61]
	v_mov_b32_e32 v5, s44
	global_atomic_add v5, v29, v5, s[28:29] offset:384 glc
.LBB1_551:                              ;   in Loop: Header=BB1_519 Depth=2
	s_or_b64 exec, exec, s[58:59]
	s_waitcnt vmcnt(0)
	v_readfirstlane_b32 s44, v5
	v_add_u32_e32 v6, s44, v0
	v_ashrrev_i32_e32 v7, 31, v6
	v_lshlrev_b64 v[10:11], 2, v[6:7]
	v_mov_b32_e32 v0, s64
	v_add_co_u32_e32 v10, vcc, s63, v10
	v_addc_co_u32_e32 v11, vcc, v0, v11, vcc
	s_andn2_b64 vcc, exec, s[6:7]
	global_store_dword v[10:11], v1, off
	s_cbranch_vccnz .LBB1_553
; %bb.552:                              ;   in Loop: Header=BB1_519 Depth=2
	v_ashrrev_i32_e32 v5, 31, v4
	v_lshlrev_b64 v[0:1], 2, v[4:5]
	v_mov_b32_e32 v5, s37
	v_add_co_u32_e32 v0, vcc, s31, v0
	v_addc_co_u32_e32 v1, vcc, v5, v1, vcc
	global_load_dword v0, v[0:1], off
	s_cbranch_execz .LBB1_554
	s_branch .LBB1_555
.LBB1_553:                              ;   in Loop: Header=BB1_519 Depth=2
                                        ; implicit-def: $vgpr0
.LBB1_554:                              ;   in Loop: Header=BB1_519 Depth=2
	s_waitcnt vmcnt(0)
	v_add3_u32 v0, s25, v4, 1
.LBB1_555:                              ;   in Loop: Header=BB1_519 Depth=2
	s_or_b64 s[56:57], s[56:57], exec
	s_or_b64 exec, exec, s[54:55]
	s_and_saveexec_b64 s[54:55], s[56:57]
	s_cbranch_execnz .LBB1_562
	s_branch .LBB1_563
.LBB1_556:                              ;   in Loop: Header=BB1_519 Depth=2
                                        ; implicit-def: $vgpr0
.LBB1_557:                              ;   in Loop: Header=BB1_519 Depth=2
	s_waitcnt vmcnt(0)
	v_add3_u32 v0, v8, s25, 1
.LBB1_558:                              ;   in Loop: Header=BB1_519 Depth=2
	s_mov_b64 s[60:61], exec
.LBB1_559:                              ;   in Loop: Header=BB1_519 Depth=2
	s_or_b64 exec, exec, s[58:59]
	s_and_b64 s[58:59], s[60:61], exec
.LBB1_560:                              ;   in Loop: Header=BB1_519 Depth=2
	s_or_b64 exec, exec, s[56:57]
	s_and_b64 s[56:57], s[58:59], exec
	s_andn2_saveexec_b64 s[54:55], s[54:55]
	s_cbranch_execnz .LBB1_549
.LBB1_561:                              ;   in Loop: Header=BB1_519 Depth=2
	s_or_b64 exec, exec, s[54:55]
	s_and_saveexec_b64 s[54:55], s[56:57]
	s_cbranch_execz .LBB1_563
.LBB1_562:                              ;   in Loop: Header=BB1_519 Depth=2
	v_lshlrev_b64 v[6:7], 2, v[6:7]
	v_mov_b32_e32 v1, s62
	v_add_co_u32_e32 v6, vcc, s33, v6
	v_addc_co_u32_e32 v7, vcc, v1, v7, vcc
	s_waitcnt vmcnt(0)
	global_store_dword v[6:7], v0, off
.LBB1_563:                              ;   in Loop: Header=BB1_519 Depth=2
	s_or_b64 exec, exec, s[54:55]
	v_cmp_gt_i32_e32 vcc, 0, v2
	s_waitcnt vmcnt(0)
	v_cndmask_b32_e64 v0, v61, 0, vcc
	v_xor_b32_e32 v6, v0, v2
	v_cmp_ge_u32_e32 vcc, v6, v40
	s_mov_b64 s[56:57], 0
                                        ; implicit-def: $vgpr5
                                        ; implicit-def: $vgpr0_vgpr1
	s_and_saveexec_b64 s[54:55], vcc
	s_xor_b64 s[54:55], exec, s[54:55]
	s_cbranch_execz .LBB1_570
; %bb.564:                              ;   in Loop: Header=BB1_519 Depth=2
	v_cmp_eq_u32_e32 vcc, v6, v40
	s_mov_b64 s[58:59], 0
                                        ; implicit-def: $vgpr5
                                        ; implicit-def: $vgpr0_vgpr1
	s_and_saveexec_b64 s[56:57], vcc
	s_cbranch_execz .LBB1_582
; %bb.565:                              ;   in Loop: Header=BB1_519 Depth=2
	s_mov_b64 s[60:61], exec
	v_mbcnt_lo_u32_b32 v0, s60, 0
	v_mbcnt_hi_u32_b32 v0, s61, v0
	v_cmp_eq_u32_e32 vcc, 0, v0
                                        ; implicit-def: $vgpr1
	s_and_saveexec_b64 s[58:59], vcc
	s_cbranch_execz .LBB1_567
; %bb.566:                              ;   in Loop: Header=BB1_519 Depth=2
	s_bcnt1_i32_b64 s44, s[60:61]
	v_mov_b32_e32 v1, s44
	global_atomic_add v1, v29, v1, s[28:29] offset:512 glc
.LBB1_567:                              ;   in Loop: Header=BB1_519 Depth=2
	s_or_b64 exec, exec, s[58:59]
	s_waitcnt vmcnt(0)
	v_readfirstlane_b32 s44, v1
	v_add_u32_e32 v6, s44, v0
	v_cmp_lt_i32_e32 vcc, v6, v41
	s_mov_b64 s[60:61], 0
                                        ; implicit-def: $vgpr5
                                        ; implicit-def: $vgpr0_vgpr1
	s_and_saveexec_b64 s[58:59], vcc
	s_cbranch_execz .LBB1_581
; %bb.568:                              ;   in Loop: Header=BB1_519 Depth=2
	v_xad_u32 v0, v6, -1, s73
	v_ashrrev_i32_e32 v1, 31, v0
	v_lshlrev_b64 v[6:7], 2, v[0:1]
	v_mov_b32_e32 v5, s64
	v_add_co_u32_e32 v6, vcc, s63, v6
	v_addc_co_u32_e32 v7, vcc, v5, v7, vcc
	s_andn2_b64 vcc, exec, s[6:7]
	global_store_dword v[6:7], v2, off
	s_cbranch_vccnz .LBB1_578
; %bb.569:                              ;   in Loop: Header=BB1_519 Depth=2
	v_ashrrev_i32_e32 v5, 31, v4
	v_lshlrev_b64 v[6:7], 2, v[4:5]
	v_mov_b32_e32 v5, s67
	v_add_co_u32_e32 v6, vcc, s66, v6
	v_addc_co_u32_e32 v7, vcc, v5, v7, vcc
	global_load_dword v5, v[6:7], off
	s_andn2_b64 vcc, exec, s[60:61]
	s_cbranch_vccz .LBB1_579
	s_branch .LBB1_580
.LBB1_570:                              ;   in Loop: Header=BB1_519 Depth=2
	s_andn2_saveexec_b64 s[54:55], s[54:55]
	s_cbranch_execz .LBB1_583
.LBB1_571:                              ;   in Loop: Header=BB1_519 Depth=2
	s_mov_b64 s[60:61], exec
	v_mbcnt_lo_u32_b32 v0, s60, 0
	v_mbcnt_hi_u32_b32 v0, s61, v0
	v_cmp_eq_u32_e32 vcc, 0, v0
                                        ; implicit-def: $vgpr1
	s_and_saveexec_b64 s[58:59], vcc
	s_cbranch_execz .LBB1_573
; %bb.572:                              ;   in Loop: Header=BB1_519 Depth=2
	s_bcnt1_i32_b64 s44, s[60:61]
	v_mov_b32_e32 v1, s44
	global_atomic_add v1, v29, v1, s[28:29] offset:384 glc
.LBB1_573:                              ;   in Loop: Header=BB1_519 Depth=2
	s_or_b64 exec, exec, s[58:59]
	s_waitcnt vmcnt(0)
	v_readfirstlane_b32 s44, v1
	v_add_u32_e32 v0, s44, v0
	v_ashrrev_i32_e32 v1, 31, v0
	v_lshlrev_b64 v[6:7], 2, v[0:1]
	v_mov_b32_e32 v5, s64
	v_add_co_u32_e32 v6, vcc, s63, v6
	v_addc_co_u32_e32 v7, vcc, v5, v7, vcc
	s_andn2_b64 vcc, exec, s[6:7]
	global_store_dword v[6:7], v2, off
	s_cbranch_vccnz .LBB1_575
; %bb.574:                              ;   in Loop: Header=BB1_519 Depth=2
	v_ashrrev_i32_e32 v5, 31, v4
	v_lshlrev_b64 v[6:7], 2, v[4:5]
	v_mov_b32_e32 v2, s67
	v_add_co_u32_e32 v6, vcc, s66, v6
	v_addc_co_u32_e32 v7, vcc, v2, v7, vcc
	global_load_dword v5, v[6:7], off
	s_cbranch_execz .LBB1_576
	s_branch .LBB1_577
.LBB1_575:                              ;   in Loop: Header=BB1_519 Depth=2
                                        ; implicit-def: $vgpr5
.LBB1_576:                              ;   in Loop: Header=BB1_519 Depth=2
	s_waitcnt vmcnt(0)
	v_add3_u32 v5, s25, v4, 2
.LBB1_577:                              ;   in Loop: Header=BB1_519 Depth=2
	s_or_b64 s[56:57], s[56:57], exec
	s_or_b64 exec, exec, s[54:55]
	s_and_saveexec_b64 s[54:55], s[56:57]
	s_cbranch_execnz .LBB1_584
	s_branch .LBB1_585
.LBB1_578:                              ;   in Loop: Header=BB1_519 Depth=2
                                        ; implicit-def: $vgpr5
.LBB1_579:                              ;   in Loop: Header=BB1_519 Depth=2
	s_waitcnt vmcnt(0)
	v_add3_u32 v5, v8, s25, 2
.LBB1_580:                              ;   in Loop: Header=BB1_519 Depth=2
	s_mov_b64 s[60:61], exec
.LBB1_581:                              ;   in Loop: Header=BB1_519 Depth=2
	s_or_b64 exec, exec, s[58:59]
	s_and_b64 s[58:59], s[60:61], exec
.LBB1_582:                              ;   in Loop: Header=BB1_519 Depth=2
	s_or_b64 exec, exec, s[56:57]
	s_and_b64 s[56:57], s[58:59], exec
	s_andn2_saveexec_b64 s[54:55], s[54:55]
	s_cbranch_execnz .LBB1_571
.LBB1_583:                              ;   in Loop: Header=BB1_519 Depth=2
	s_or_b64 exec, exec, s[54:55]
	s_and_saveexec_b64 s[54:55], s[56:57]
	s_cbranch_execz .LBB1_585
.LBB1_584:                              ;   in Loop: Header=BB1_519 Depth=2
	v_lshlrev_b64 v[0:1], 2, v[0:1]
	v_mov_b32_e32 v2, s62
	v_add_co_u32_e32 v0, vcc, s33, v0
	v_addc_co_u32_e32 v1, vcc, v2, v1, vcc
	s_waitcnt vmcnt(0)
	global_store_dword v[0:1], v5, off
.LBB1_585:                              ;   in Loop: Header=BB1_519 Depth=2
	s_or_b64 exec, exec, s[54:55]
	v_cmp_gt_i32_e32 vcc, 0, v3
	v_cndmask_b32_e64 v0, v61, 0, vcc
	v_xor_b32_e32 v0, v0, v3
	v_cmp_ge_u32_e32 vcc, v0, v40
	s_mov_b64 s[56:57], 0
                                        ; implicit-def: $vgpr5
                                        ; implicit-def: $vgpr6_vgpr7
	s_and_saveexec_b64 s[54:55], vcc
	s_xor_b64 s[54:55], exec, s[54:55]
	s_cbranch_execz .LBB1_592
; %bb.586:                              ;   in Loop: Header=BB1_519 Depth=2
	v_cmp_eq_u32_e32 vcc, v0, v40
	s_mov_b64 s[58:59], 0
                                        ; implicit-def: $vgpr5
                                        ; implicit-def: $vgpr6_vgpr7
	s_and_saveexec_b64 s[56:57], vcc
	s_cbranch_execz .LBB1_604
; %bb.587:                              ;   in Loop: Header=BB1_519 Depth=2
	s_mov_b64 s[60:61], exec
	v_mbcnt_lo_u32_b32 v0, s60, 0
	v_mbcnt_hi_u32_b32 v0, s61, v0
	v_cmp_eq_u32_e32 vcc, 0, v0
                                        ; implicit-def: $vgpr1
	s_and_saveexec_b64 s[58:59], vcc
	s_cbranch_execz .LBB1_589
; %bb.588:                              ;   in Loop: Header=BB1_519 Depth=2
	s_bcnt1_i32_b64 s44, s[60:61]
	v_mov_b32_e32 v1, s44
	global_atomic_add v1, v29, v1, s[28:29] offset:512 glc
.LBB1_589:                              ;   in Loop: Header=BB1_519 Depth=2
	s_or_b64 exec, exec, s[58:59]
	s_waitcnt vmcnt(0)
	v_readfirstlane_b32 s44, v1
	v_add_u32_e32 v0, s44, v0
	v_cmp_lt_i32_e32 vcc, v0, v41
	s_mov_b64 s[60:61], 0
                                        ; implicit-def: $vgpr5
                                        ; implicit-def: $vgpr6_vgpr7
	s_and_saveexec_b64 s[58:59], vcc
	s_cbranch_execz .LBB1_603
; %bb.590:                              ;   in Loop: Header=BB1_519 Depth=2
	v_xad_u32 v6, v0, -1, s73
	v_ashrrev_i32_e32 v7, 31, v6
	v_lshlrev_b64 v[0:1], 2, v[6:7]
	v_mov_b32_e32 v2, s64
	v_add_co_u32_e32 v0, vcc, s63, v0
	v_addc_co_u32_e32 v1, vcc, v2, v1, vcc
	s_andn2_b64 vcc, exec, s[6:7]
	global_store_dword v[0:1], v3, off
	s_cbranch_vccnz .LBB1_600
; %bb.591:                              ;   in Loop: Header=BB1_519 Depth=2
	v_ashrrev_i32_e32 v5, 31, v4
	v_lshlrev_b64 v[0:1], 2, v[4:5]
	v_mov_b32_e32 v2, s69
	v_add_co_u32_e32 v0, vcc, s68, v0
	v_addc_co_u32_e32 v1, vcc, v2, v1, vcc
	global_load_dword v5, v[0:1], off
	s_andn2_b64 vcc, exec, s[60:61]
	s_cbranch_vccz .LBB1_601
	s_branch .LBB1_602
.LBB1_592:                              ;   in Loop: Header=BB1_519 Depth=2
	s_andn2_saveexec_b64 s[54:55], s[54:55]
	s_cbranch_execz .LBB1_605
.LBB1_593:                              ;   in Loop: Header=BB1_519 Depth=2
	s_mov_b64 s[60:61], exec
	v_mbcnt_lo_u32_b32 v0, s60, 0
	v_mbcnt_hi_u32_b32 v0, s61, v0
	v_cmp_eq_u32_e32 vcc, 0, v0
                                        ; implicit-def: $vgpr1
	s_and_saveexec_b64 s[58:59], vcc
	s_cbranch_execz .LBB1_595
; %bb.594:                              ;   in Loop: Header=BB1_519 Depth=2
	s_bcnt1_i32_b64 s44, s[60:61]
	v_mov_b32_e32 v1, s44
	global_atomic_add v1, v29, v1, s[28:29] offset:384 glc
.LBB1_595:                              ;   in Loop: Header=BB1_519 Depth=2
	s_or_b64 exec, exec, s[58:59]
	s_waitcnt vmcnt(0)
	v_readfirstlane_b32 s44, v1
	v_add_u32_e32 v6, s44, v0
	v_ashrrev_i32_e32 v7, 31, v6
	v_lshlrev_b64 v[0:1], 2, v[6:7]
	v_mov_b32_e32 v2, s64
	v_add_co_u32_e32 v0, vcc, s63, v0
	v_addc_co_u32_e32 v1, vcc, v2, v1, vcc
	s_andn2_b64 vcc, exec, s[6:7]
	global_store_dword v[0:1], v3, off
	s_cbranch_vccnz .LBB1_597
; %bb.596:                              ;   in Loop: Header=BB1_519 Depth=2
	v_ashrrev_i32_e32 v5, 31, v4
	v_lshlrev_b64 v[0:1], 2, v[4:5]
	v_mov_b32_e32 v2, s69
	v_add_co_u32_e32 v0, vcc, s68, v0
	v_addc_co_u32_e32 v1, vcc, v2, v1, vcc
	global_load_dword v5, v[0:1], off
	s_cbranch_execz .LBB1_598
	s_branch .LBB1_599
.LBB1_597:                              ;   in Loop: Header=BB1_519 Depth=2
                                        ; implicit-def: $vgpr5
.LBB1_598:                              ;   in Loop: Header=BB1_519 Depth=2
	s_waitcnt vmcnt(0)
	v_add3_u32 v5, s25, v4, 3
.LBB1_599:                              ;   in Loop: Header=BB1_519 Depth=2
	s_or_b64 s[56:57], s[56:57], exec
	s_or_b64 exec, exec, s[54:55]
	s_and_saveexec_b64 s[54:55], s[56:57]
	s_cbranch_execz .LBB1_518
	s_branch .LBB1_606
.LBB1_600:                              ;   in Loop: Header=BB1_519 Depth=2
                                        ; implicit-def: $vgpr5
.LBB1_601:                              ;   in Loop: Header=BB1_519 Depth=2
	s_waitcnt vmcnt(0)
	v_add3_u32 v5, v8, s25, 3
.LBB1_602:                              ;   in Loop: Header=BB1_519 Depth=2
	s_mov_b64 s[60:61], exec
.LBB1_603:                              ;   in Loop: Header=BB1_519 Depth=2
	s_or_b64 exec, exec, s[58:59]
	s_and_b64 s[58:59], s[60:61], exec
.LBB1_604:                              ;   in Loop: Header=BB1_519 Depth=2
	s_or_b64 exec, exec, s[56:57]
	s_and_b64 s[56:57], s[58:59], exec
                                        ; implicit-def: $vgpr0_vgpr1_vgpr2_vgpr3
	s_andn2_saveexec_b64 s[54:55], s[54:55]
	s_cbranch_execnz .LBB1_593
.LBB1_605:                              ;   in Loop: Header=BB1_519 Depth=2
	s_or_b64 exec, exec, s[54:55]
	s_and_saveexec_b64 s[54:55], s[56:57]
	s_cbranch_execz .LBB1_518
.LBB1_606:                              ;   in Loop: Header=BB1_519 Depth=2
	v_lshlrev_b64 v[0:1], 2, v[6:7]
	v_mov_b32_e32 v2, s62
	v_add_co_u32_e32 v0, vcc, s33, v0
	v_addc_co_u32_e32 v1, vcc, v2, v1, vcc
	s_waitcnt vmcnt(0)
	global_store_dword v[0:1], v5, off
	s_branch .LBB1_518
.LBB1_607:                              ;   in Loop: Header=BB1_22 Depth=1
	s_or_b64 exec, exec, s[4:5]
	s_and_saveexec_b64 s[4:5], s[2:3]
	s_cbranch_execz .LBB1_624
; %bb.608:                              ;   in Loop: Header=BB1_22 Depth=1
	global_load_dword v2, v[16:17], off
	s_mov_b64 s[56:57], 0
	s_mov_b64 s[54:55], 0
                                        ; implicit-def: $vgpr3
	s_waitcnt vmcnt(0)
	v_cmp_gt_i32_e32 vcc, 0, v2
	v_cndmask_b32_e64 v0, v61, 0, vcc
	v_xor_b32_e32 v4, v0, v2
	s_waitcnt lgkmcnt(0)
	v_cmp_ge_u32_e32 vcc, v4, v40
                                        ; implicit-def: $vgpr0_vgpr1
	s_and_saveexec_b64 s[52:53], vcc
	s_xor_b64 s[52:53], exec, s[52:53]
	s_cbranch_execz .LBB1_618
; %bb.609:                              ;   in Loop: Header=BB1_22 Depth=1
	v_cmp_eq_u32_e32 vcc, v4, v40
	s_mov_b64 s[60:61], 0
                                        ; implicit-def: $vgpr0_vgpr1
	s_and_saveexec_b64 s[54:55], vcc
	s_cbranch_execz .LBB1_615
; %bb.610:                              ;   in Loop: Header=BB1_22 Depth=1
	s_mov_b64 s[58:59], exec
	v_mbcnt_lo_u32_b32 v0, s58, 0
	v_mbcnt_hi_u32_b32 v0, s59, v0
	v_cmp_eq_u32_e32 vcc, 0, v0
                                        ; implicit-def: $vgpr1
	s_and_saveexec_b64 s[56:57], vcc
	s_cbranch_execz .LBB1_612
; %bb.611:                              ;   in Loop: Header=BB1_22 Depth=1
	s_bcnt1_i32_b64 s44, s[58:59]
	v_mov_b32_e32 v1, s44
	global_atomic_add v1, v29, v1, s[28:29] offset:512 glc
.LBB1_612:                              ;   in Loop: Header=BB1_22 Depth=1
	s_or_b64 exec, exec, s[56:57]
	s_waitcnt vmcnt(0)
	v_readfirstlane_b32 s44, v1
	v_add_u32_e32 v3, s44, v0
	v_cmp_lt_i32_e32 vcc, v3, v41
	s_mov_b64 s[58:59], 0
                                        ; implicit-def: $vgpr0_vgpr1
	s_and_saveexec_b64 s[56:57], vcc
	s_xor_b64 s[56:57], exec, s[56:57]
	s_cbranch_execz .LBB1_614
; %bb.613:                              ;   in Loop: Header=BB1_22 Depth=1
	v_xad_u32 v0, v3, -1, s73
	v_ashrrev_i32_e32 v1, 31, v0
	v_lshlrev_b64 v[4:5], 2, v[0:1]
	v_mov_b32_e32 v3, s64
	v_add_co_u32_e32 v4, vcc, s63, v4
	v_addc_co_u32_e32 v5, vcc, v3, v5, vcc
	s_and_b64 s[60:61], s[46:47], exec
	s_and_b64 s[58:59], s[6:7], exec
	global_store_dword v[4:5], v2, off
.LBB1_614:                              ;   in Loop: Header=BB1_22 Depth=1
	s_or_b64 exec, exec, s[56:57]
	s_and_b64 s[60:61], s[60:61], exec
	s_and_b64 s[56:57], s[58:59], exec
.LBB1_615:                              ;   in Loop: Header=BB1_22 Depth=1
	s_or_b64 exec, exec, s[54:55]
	s_and_b64 s[54:55], s[60:61], exec
	s_and_b64 s[56:57], s[56:57], exec
	v_mov_b32_e32 v3, v51
                                        ; implicit-def: $vgpr2
	s_andn2_saveexec_b64 s[52:53], s[52:53]
	s_cbranch_execnz .LBB1_619
.LBB1_616:                              ;   in Loop: Header=BB1_22 Depth=1
	s_or_b64 exec, exec, s[52:53]
	s_and_saveexec_b64 s[52:53], s[56:57]
	s_cbranch_execz .LBB1_622
.LBB1_617:                              ;   in Loop: Header=BB1_22 Depth=1
	global_load_dword v3, v[18:19], off
	s_or_b64 s[54:55], s[54:55], exec
	s_or_b64 exec, exec, s[52:53]
	s_and_b64 exec, exec, s[54:55]
	s_cbranch_execnz .LBB1_623
	s_branch .LBB1_624
.LBB1_618:                              ;   in Loop: Header=BB1_22 Depth=1
	s_andn2_saveexec_b64 s[52:53], s[52:53]
	s_cbranch_execz .LBB1_616
.LBB1_619:                              ;   in Loop: Header=BB1_22 Depth=1
	s_mov_b64 s[60:61], exec
	v_mbcnt_lo_u32_b32 v0, s60, 0
	v_mbcnt_hi_u32_b32 v0, s61, v0
	v_cmp_eq_u32_e32 vcc, 0, v0
                                        ; implicit-def: $vgpr1
	s_and_saveexec_b64 s[58:59], vcc
	s_cbranch_execz .LBB1_621
; %bb.620:                              ;   in Loop: Header=BB1_22 Depth=1
	s_bcnt1_i32_b64 s44, s[60:61]
	v_mov_b32_e32 v1, s44
	global_atomic_add v1, v29, v1, s[28:29] offset:384 glc
.LBB1_621:                              ;   in Loop: Header=BB1_22 Depth=1
	s_or_b64 exec, exec, s[58:59]
	s_waitcnt vmcnt(0)
	v_readfirstlane_b32 s44, v1
	v_add_u32_e32 v0, s44, v0
	v_ashrrev_i32_e32 v1, 31, v0
	v_lshlrev_b64 v[4:5], 2, v[0:1]
	s_andn2_b64 s[54:55], s[54:55], exec
	s_and_b64 s[58:59], s[46:47], exec
	v_mov_b32_e32 v3, s64
	v_add_co_u32_e32 v4, vcc, s63, v4
	s_or_b64 s[54:55], s[54:55], s[58:59]
	s_andn2_b64 s[56:57], s[56:57], exec
	s_and_b64 s[58:59], s[6:7], exec
	v_addc_co_u32_e32 v5, vcc, v3, v5, vcc
	s_or_b64 s[56:57], s[56:57], s[58:59]
	v_mov_b32_e32 v3, v51
	global_store_dword v[4:5], v2, off
	s_or_b64 exec, exec, s[52:53]
	s_and_saveexec_b64 s[52:53], s[56:57]
	s_cbranch_execnz .LBB1_617
.LBB1_622:                              ;   in Loop: Header=BB1_22 Depth=1
	s_or_b64 exec, exec, s[52:53]
	s_and_b64 exec, exec, s[54:55]
	s_cbranch_execz .LBB1_624
.LBB1_623:                              ;   in Loop: Header=BB1_22 Depth=1
	v_lshlrev_b64 v[0:1], 2, v[0:1]
	v_mov_b32_e32 v2, s62
	v_add_co_u32_e32 v0, vcc, s33, v0
	v_addc_co_u32_e32 v1, vcc, v2, v1, vcc
	s_waitcnt vmcnt(0)
	global_store_dword v[0:1], v3, off
.LBB1_624:                              ;   in Loop: Header=BB1_22 Depth=1
	s_or_b64 exec, exec, s[4:5]
	s_and_saveexec_b64 s[4:5], s[0:1]
	s_cbranch_execz .LBB1_641
; %bb.625:                              ;   in Loop: Header=BB1_22 Depth=1
	global_load_dword v2, v[14:15], off
	s_mov_b64 s[56:57], 0
	s_mov_b64 s[54:55], 0
                                        ; implicit-def: $vgpr3
	s_waitcnt vmcnt(0)
	v_cmp_gt_i32_e32 vcc, 0, v2
	v_cndmask_b32_e64 v0, v61, 0, vcc
	v_xor_b32_e32 v4, v0, v2
	s_waitcnt lgkmcnt(0)
	v_cmp_ge_u32_e32 vcc, v4, v40
                                        ; implicit-def: $vgpr0_vgpr1
	s_and_saveexec_b64 s[52:53], vcc
	s_xor_b64 s[52:53], exec, s[52:53]
	s_cbranch_execz .LBB1_635
; %bb.626:                              ;   in Loop: Header=BB1_22 Depth=1
	v_cmp_eq_u32_e32 vcc, v4, v40
	s_mov_b64 s[60:61], 0
                                        ; implicit-def: $vgpr0_vgpr1
	s_and_saveexec_b64 s[54:55], vcc
	s_cbranch_execz .LBB1_632
; %bb.627:                              ;   in Loop: Header=BB1_22 Depth=1
	s_mov_b64 s[58:59], exec
	v_mbcnt_lo_u32_b32 v0, s58, 0
	v_mbcnt_hi_u32_b32 v0, s59, v0
	v_cmp_eq_u32_e32 vcc, 0, v0
                                        ; implicit-def: $vgpr1
	s_and_saveexec_b64 s[56:57], vcc
	s_cbranch_execz .LBB1_629
; %bb.628:                              ;   in Loop: Header=BB1_22 Depth=1
	s_bcnt1_i32_b64 s44, s[58:59]
	v_mov_b32_e32 v1, s44
	global_atomic_add v1, v29, v1, s[28:29] offset:512 glc
.LBB1_629:                              ;   in Loop: Header=BB1_22 Depth=1
	s_or_b64 exec, exec, s[56:57]
	s_waitcnt vmcnt(0)
	v_readfirstlane_b32 s44, v1
	v_add_u32_e32 v3, s44, v0
	v_cmp_lt_i32_e32 vcc, v3, v41
	s_mov_b64 s[58:59], 0
                                        ; implicit-def: $vgpr0_vgpr1
	s_and_saveexec_b64 s[56:57], vcc
	s_xor_b64 s[56:57], exec, s[56:57]
	s_cbranch_execz .LBB1_631
; %bb.630:                              ;   in Loop: Header=BB1_22 Depth=1
	v_xad_u32 v0, v3, -1, s73
	v_ashrrev_i32_e32 v1, 31, v0
	v_lshlrev_b64 v[4:5], 2, v[0:1]
	v_mov_b32_e32 v3, s64
	v_add_co_u32_e32 v4, vcc, s63, v4
	v_addc_co_u32_e32 v5, vcc, v3, v5, vcc
	s_and_b64 s[60:61], s[46:47], exec
	s_and_b64 s[58:59], s[6:7], exec
	global_store_dword v[4:5], v2, off
.LBB1_631:                              ;   in Loop: Header=BB1_22 Depth=1
	s_or_b64 exec, exec, s[56:57]
	s_and_b64 s[60:61], s[60:61], exec
	s_and_b64 s[56:57], s[58:59], exec
.LBB1_632:                              ;   in Loop: Header=BB1_22 Depth=1
	s_or_b64 exec, exec, s[54:55]
	s_and_b64 s[54:55], s[60:61], exec
	s_and_b64 s[56:57], s[56:57], exec
	v_mov_b32_e32 v3, v50
                                        ; implicit-def: $vgpr2
	s_andn2_saveexec_b64 s[52:53], s[52:53]
	s_cbranch_execnz .LBB1_636
.LBB1_633:                              ;   in Loop: Header=BB1_22 Depth=1
	s_or_b64 exec, exec, s[52:53]
	s_and_saveexec_b64 s[52:53], s[56:57]
	s_cbranch_execz .LBB1_639
.LBB1_634:                              ;   in Loop: Header=BB1_22 Depth=1
	global_load_dword v3, v[12:13], off
	s_or_b64 s[54:55], s[54:55], exec
	s_or_b64 exec, exec, s[52:53]
	s_and_b64 exec, exec, s[54:55]
	s_cbranch_execnz .LBB1_640
	s_branch .LBB1_641
.LBB1_635:                              ;   in Loop: Header=BB1_22 Depth=1
	s_andn2_saveexec_b64 s[52:53], s[52:53]
	s_cbranch_execz .LBB1_633
.LBB1_636:                              ;   in Loop: Header=BB1_22 Depth=1
	s_mov_b64 s[60:61], exec
	v_mbcnt_lo_u32_b32 v0, s60, 0
	v_mbcnt_hi_u32_b32 v0, s61, v0
	v_cmp_eq_u32_e32 vcc, 0, v0
                                        ; implicit-def: $vgpr1
	s_and_saveexec_b64 s[58:59], vcc
	s_cbranch_execz .LBB1_638
; %bb.637:                              ;   in Loop: Header=BB1_22 Depth=1
	s_bcnt1_i32_b64 s44, s[60:61]
	v_mov_b32_e32 v1, s44
	global_atomic_add v1, v29, v1, s[28:29] offset:384 glc
.LBB1_638:                              ;   in Loop: Header=BB1_22 Depth=1
	s_or_b64 exec, exec, s[58:59]
	s_waitcnt vmcnt(0)
	v_readfirstlane_b32 s44, v1
	v_add_u32_e32 v0, s44, v0
	v_ashrrev_i32_e32 v1, 31, v0
	v_lshlrev_b64 v[4:5], 2, v[0:1]
	s_andn2_b64 s[54:55], s[54:55], exec
	s_and_b64 s[58:59], s[46:47], exec
	v_mov_b32_e32 v3, s64
	v_add_co_u32_e32 v4, vcc, s63, v4
	s_or_b64 s[54:55], s[54:55], s[58:59]
	s_andn2_b64 s[56:57], s[56:57], exec
	s_and_b64 s[58:59], s[6:7], exec
	v_addc_co_u32_e32 v5, vcc, v3, v5, vcc
	s_or_b64 s[56:57], s[56:57], s[58:59]
	v_mov_b32_e32 v3, v50
	global_store_dword v[4:5], v2, off
	s_or_b64 exec, exec, s[52:53]
	s_and_saveexec_b64 s[52:53], s[56:57]
	s_cbranch_execnz .LBB1_634
.LBB1_639:                              ;   in Loop: Header=BB1_22 Depth=1
	s_or_b64 exec, exec, s[52:53]
	s_and_b64 exec, exec, s[54:55]
	s_cbranch_execz .LBB1_641
.LBB1_640:                              ;   in Loop: Header=BB1_22 Depth=1
	v_lshlrev_b64 v[0:1], 2, v[0:1]
	v_mov_b32_e32 v2, s62
	v_add_co_u32_e32 v0, vcc, s33, v0
	v_addc_co_u32_e32 v1, vcc, v2, v1, vcc
	s_waitcnt vmcnt(0)
	global_store_dword v[0:1], v3, off
.LBB1_641:                              ;   in Loop: Header=BB1_22 Depth=1
	s_or_b64 exec, exec, s[4:5]
.LBB1_642:                              ;   in Loop: Header=BB1_22 Depth=1
	s_add_i32 s93, s93, 1
	s_add_u32 s50, s50, 0x2000
	s_addc_u32 s51, s51, 0
	v_add_co_u32_e32 v38, vcc, 0x2000, v38
	s_cmp_eq_u32 s93, 3
	v_addc_co_u32_e32 v39, vcc, 0, v39, vcc
	s_mov_b64 s[4:5], -1
	s_cselect_b64 s[52:53], -1, 0
	s_branch .LBB1_21
.LBB1_643:
	s_andn2_b64 vcc, exec, s[4:5]
	s_cbranch_vccz .LBB1_825
; %bb.644:
	v_mov_b32_e32 v29, 0
	ds_read_b32 v28, v29 offset:16896
	s_add_i32 s18, s94, 32
	s_and_saveexec_b64 s[10:11], s[8:9]
	s_cbranch_execz .LBB1_776
; %bb.645:
	v_cndmask_b32_e64 v0, 0, 1, s[6:7]
	s_lshl_b32 s19, -1, s18
	s_mov_b64 s[8:9], 0
	v_mov_b32_e32 v30, s70
	v_mov_b32_e32 v31, s39
	v_bfrev_b32_e32 v32, -2
	v_cmp_ne_u32_e64 s[4:5], 1, v0
	s_branch .LBB1_649
.LBB1_646:                              ;   in Loop: Header=BB1_649 Depth=1
	s_waitcnt vmcnt(0)
	v_add3_u32 v2, v4, s25, 3
.LBB1_647:                              ;   in Loop: Header=BB1_649 Depth=1
	v_mov_b32_e32 v3, s62
	v_add_co_u32_e32 v0, vcc, s33, v0
	v_addc_co_u32_e32 v1, vcc, v3, v1, vcc
	s_waitcnt vmcnt(0)
	global_store_dword v[0:1], v2, off
.LBB1_648:                              ;   in Loop: Header=BB1_649 Depth=1
	s_or_b64 exec, exec, s[12:13]
	v_add_u32_e32 v20, s65, v20
	v_ashrrev_i32_e32 v21, 31, v20
	v_mov_b32_e32 v0, s71
	v_add_co_u32_e32 v22, vcc, s72, v20
	v_addc_co_u32_e32 v23, vcc, v0, v21, vcc
	v_cmp_le_u64_e32 vcc, s[34:35], v[22:23]
	s_or_b64 s[8:9], vcc, s[8:9]
	s_andn2_b64 exec, exec, s[8:9]
	s_cbranch_execz .LBB1_775
.LBB1_649:                              ; =>This Inner Loop Header: Depth=1
	v_lshlrev_b64 v[0:1], 4, v[20:21]
	v_add_co_u32_e32 v4, vcc, s24, v0
	s_waitcnt vmcnt(0)
	v_addc_co_u32_e32 v5, vcc, v30, v1, vcc
	global_load_dwordx4 v[0:3], v[4:5], off
	v_add_co_u32_e32 v8, vcc, s38, v4
	v_addc_co_u32_e32 v9, vcc, v5, v31, vcc
	global_load_dwordx4 v[4:7], v[8:9], off
	v_lshl_add_u32 v10, v20, 2, s36
	s_waitcnt vmcnt(1)
	v_cmp_gt_i32_e32 vcc, 0, v0
	v_cndmask_b32_e64 v11, v32, 0, vcc
	v_xor_b32_e32 v11, v11, v0
	v_and_b32_e32 v11, s19, v11
	s_waitcnt lgkmcnt(0)
	v_cmp_le_u32_e32 vcc, v11, v28
	s_and_saveexec_b64 s[12:13], vcc
	s_cbranch_execz .LBB1_657
; %bb.650:                              ;   in Loop: Header=BB1_649 Depth=1
	s_mov_b64 s[16:17], exec
	v_mbcnt_lo_u32_b32 v11, s16, 0
	v_mbcnt_hi_u32_b32 v11, s17, v11
	v_cmp_eq_u32_e32 vcc, 0, v11
                                        ; implicit-def: $vgpr21
	s_and_saveexec_b64 s[14:15], vcc
	s_cbranch_execz .LBB1_652
; %bb.651:                              ;   in Loop: Header=BB1_649 Depth=1
	s_bcnt1_i32_b64 s16, s[16:17]
	v_mov_b32_e32 v21, s16
	global_atomic_add v21, v29, v21, s[28:29] offset:384 glc
.LBB1_652:                              ;   in Loop: Header=BB1_649 Depth=1
	s_or_b64 exec, exec, s[14:15]
	s_waitcnt vmcnt(0)
	v_readfirstlane_b32 s14, v21
	v_add_u32_e32 v24, s14, v11
	v_ashrrev_i32_e32 v25, 31, v24
	v_lshlrev_b64 v[24:25], 2, v[24:25]
	v_mov_b32_e32 v11, s64
	v_add_co_u32_e32 v26, vcc, s63, v24
	v_addc_co_u32_e32 v27, vcc, v11, v25, vcc
	s_and_b64 vcc, exec, s[4:5]
	global_store_dword v[26:27], v0, off
	s_cbranch_vccnz .LBB1_654
; %bb.653:                              ;   in Loop: Header=BB1_649 Depth=1
	v_ashrrev_i32_e32 v11, 31, v10
	v_lshlrev_b64 v[26:27], 2, v[10:11]
	v_mov_b32_e32 v0, s27
	v_add_co_u32_e32 v26, vcc, s26, v26
	v_addc_co_u32_e32 v27, vcc, v0, v27, vcc
	global_load_dword v0, v[26:27], off
	s_cbranch_execz .LBB1_655
	s_branch .LBB1_656
.LBB1_654:                              ;   in Loop: Header=BB1_649 Depth=1
                                        ; implicit-def: $vgpr0
.LBB1_655:                              ;   in Loop: Header=BB1_649 Depth=1
	s_waitcnt vmcnt(0)
	v_add_u32_e32 v0, s25, v10
.LBB1_656:                              ;   in Loop: Header=BB1_649 Depth=1
	v_mov_b32_e32 v11, s62
	v_add_co_u32_e32 v24, vcc, s33, v24
	v_addc_co_u32_e32 v25, vcc, v11, v25, vcc
	s_waitcnt vmcnt(0)
	global_store_dword v[24:25], v0, off
.LBB1_657:                              ;   in Loop: Header=BB1_649 Depth=1
	s_or_b64 exec, exec, s[12:13]
	v_cmp_gt_i32_e32 vcc, 0, v1
	v_cndmask_b32_e64 v0, v32, 0, vcc
	v_xor_b32_e32 v0, v0, v1
	v_and_b32_e32 v0, s19, v0
	v_cmp_le_u32_e32 vcc, v0, v28
	s_and_saveexec_b64 s[12:13], vcc
	s_cbranch_execz .LBB1_665
; %bb.658:                              ;   in Loop: Header=BB1_649 Depth=1
	s_mov_b64 s[16:17], exec
	v_mbcnt_lo_u32_b32 v0, s16, 0
	v_mbcnt_hi_u32_b32 v0, s17, v0
	v_cmp_eq_u32_e32 vcc, 0, v0
                                        ; implicit-def: $vgpr11
	s_and_saveexec_b64 s[14:15], vcc
	s_cbranch_execz .LBB1_660
; %bb.659:                              ;   in Loop: Header=BB1_649 Depth=1
	s_bcnt1_i32_b64 s16, s[16:17]
	v_mov_b32_e32 v11, s16
	global_atomic_add v11, v29, v11, s[28:29] offset:384 glc
.LBB1_660:                              ;   in Loop: Header=BB1_649 Depth=1
	s_or_b64 exec, exec, s[14:15]
	s_waitcnt vmcnt(0)
	v_readfirstlane_b32 s14, v11
	v_add_u32_e32 v24, s14, v0
	v_ashrrev_i32_e32 v25, 31, v24
	v_lshlrev_b64 v[24:25], 2, v[24:25]
	v_mov_b32_e32 v0, s64
	v_add_co_u32_e32 v26, vcc, s63, v24
	v_addc_co_u32_e32 v27, vcc, v0, v25, vcc
	s_and_b64 vcc, exec, s[4:5]
	global_store_dword v[26:27], v1, off
	s_cbranch_vccnz .LBB1_662
; %bb.661:                              ;   in Loop: Header=BB1_649 Depth=1
	v_ashrrev_i32_e32 v11, 31, v10
	v_lshlrev_b64 v[0:1], 2, v[10:11]
	v_mov_b32_e32 v11, s37
	v_add_co_u32_e32 v0, vcc, s31, v0
	v_addc_co_u32_e32 v1, vcc, v11, v1, vcc
	global_load_dword v0, v[0:1], off
	s_cbranch_execz .LBB1_663
	s_branch .LBB1_664
.LBB1_662:                              ;   in Loop: Header=BB1_649 Depth=1
                                        ; implicit-def: $vgpr0
.LBB1_663:                              ;   in Loop: Header=BB1_649 Depth=1
	s_waitcnt vmcnt(0)
	v_add3_u32 v0, v10, s25, 1
.LBB1_664:                              ;   in Loop: Header=BB1_649 Depth=1
	v_mov_b32_e32 v1, s62
	v_add_co_u32_e32 v24, vcc, s33, v24
	v_addc_co_u32_e32 v25, vcc, v1, v25, vcc
	s_waitcnt vmcnt(0)
	global_store_dword v[24:25], v0, off
.LBB1_665:                              ;   in Loop: Header=BB1_649 Depth=1
	s_or_b64 exec, exec, s[12:13]
	v_cmp_gt_i32_e32 vcc, 0, v2
	v_cndmask_b32_e64 v0, v32, 0, vcc
	v_xor_b32_e32 v0, v0, v2
	v_and_b32_e32 v0, s19, v0
	v_cmp_le_u32_e32 vcc, v0, v28
	s_and_saveexec_b64 s[12:13], vcc
	s_cbranch_execz .LBB1_673
; %bb.666:                              ;   in Loop: Header=BB1_649 Depth=1
	s_mov_b64 s[16:17], exec
	v_mbcnt_lo_u32_b32 v0, s16, 0
	v_mbcnt_hi_u32_b32 v0, s17, v0
	v_cmp_eq_u32_e32 vcc, 0, v0
                                        ; implicit-def: $vgpr1
	s_and_saveexec_b64 s[14:15], vcc
	s_cbranch_execz .LBB1_668
; %bb.667:                              ;   in Loop: Header=BB1_649 Depth=1
	s_bcnt1_i32_b64 s16, s[16:17]
	v_mov_b32_e32 v1, s16
	global_atomic_add v1, v29, v1, s[28:29] offset:384 glc
.LBB1_668:                              ;   in Loop: Header=BB1_649 Depth=1
	s_or_b64 exec, exec, s[14:15]
	s_waitcnt vmcnt(0)
	v_readfirstlane_b32 s14, v1
	v_add_u32_e32 v0, s14, v0
	v_ashrrev_i32_e32 v1, 31, v0
	v_lshlrev_b64 v[0:1], 2, v[0:1]
	v_mov_b32_e32 v11, s64
	v_add_co_u32_e32 v24, vcc, s63, v0
	v_addc_co_u32_e32 v25, vcc, v11, v1, vcc
	s_and_b64 vcc, exec, s[4:5]
	global_store_dword v[24:25], v2, off
	s_cbranch_vccnz .LBB1_670
; %bb.669:                              ;   in Loop: Header=BB1_649 Depth=1
	v_ashrrev_i32_e32 v11, 31, v10
	v_lshlrev_b64 v[24:25], 2, v[10:11]
	v_mov_b32_e32 v2, s67
	v_add_co_u32_e32 v24, vcc, s66, v24
	v_addc_co_u32_e32 v25, vcc, v2, v25, vcc
	global_load_dword v2, v[24:25], off
	s_cbranch_execz .LBB1_671
	s_branch .LBB1_672
.LBB1_670:                              ;   in Loop: Header=BB1_649 Depth=1
                                        ; implicit-def: $vgpr2
.LBB1_671:                              ;   in Loop: Header=BB1_649 Depth=1
	s_waitcnt vmcnt(0)
	v_add3_u32 v2, v10, s25, 2
.LBB1_672:                              ;   in Loop: Header=BB1_649 Depth=1
	v_mov_b32_e32 v11, s62
	v_add_co_u32_e32 v0, vcc, s33, v0
	v_addc_co_u32_e32 v1, vcc, v11, v1, vcc
	s_waitcnt vmcnt(0)
	global_store_dword v[0:1], v2, off
.LBB1_673:                              ;   in Loop: Header=BB1_649 Depth=1
	s_or_b64 exec, exec, s[12:13]
	v_cmp_gt_i32_e32 vcc, 0, v3
	v_cndmask_b32_e64 v0, v32, 0, vcc
	v_xor_b32_e32 v0, v0, v3
	v_and_b32_e32 v0, s19, v0
	v_cmp_le_u32_e32 vcc, v0, v28
	s_and_saveexec_b64 s[12:13], vcc
	s_cbranch_execz .LBB1_681
; %bb.674:                              ;   in Loop: Header=BB1_649 Depth=1
	s_mov_b64 s[16:17], exec
	v_mbcnt_lo_u32_b32 v0, s16, 0
	v_mbcnt_hi_u32_b32 v0, s17, v0
	v_cmp_eq_u32_e32 vcc, 0, v0
                                        ; implicit-def: $vgpr1
	s_and_saveexec_b64 s[14:15], vcc
	s_cbranch_execz .LBB1_676
; %bb.675:                              ;   in Loop: Header=BB1_649 Depth=1
	s_bcnt1_i32_b64 s16, s[16:17]
	v_mov_b32_e32 v1, s16
	global_atomic_add v1, v29, v1, s[28:29] offset:384 glc
.LBB1_676:                              ;   in Loop: Header=BB1_649 Depth=1
	s_or_b64 exec, exec, s[14:15]
	s_waitcnt vmcnt(0)
	v_readfirstlane_b32 s14, v1
	v_add_u32_e32 v0, s14, v0
	v_ashrrev_i32_e32 v1, 31, v0
	v_lshlrev_b64 v[0:1], 2, v[0:1]
	v_mov_b32_e32 v2, s64
	v_add_co_u32_e32 v24, vcc, s63, v0
	v_addc_co_u32_e32 v25, vcc, v2, v1, vcc
	s_and_b64 vcc, exec, s[4:5]
	global_store_dword v[24:25], v3, off
	s_cbranch_vccnz .LBB1_678
; %bb.677:                              ;   in Loop: Header=BB1_649 Depth=1
	v_ashrrev_i32_e32 v11, 31, v10
	v_lshlrev_b64 v[2:3], 2, v[10:11]
	v_mov_b32_e32 v11, s69
	v_add_co_u32_e32 v2, vcc, s68, v2
	v_addc_co_u32_e32 v3, vcc, v11, v3, vcc
	global_load_dword v2, v[2:3], off
	s_cbranch_execz .LBB1_679
	s_branch .LBB1_680
.LBB1_678:                              ;   in Loop: Header=BB1_649 Depth=1
                                        ; implicit-def: $vgpr2
.LBB1_679:                              ;   in Loop: Header=BB1_649 Depth=1
	s_waitcnt vmcnt(0)
	v_add3_u32 v2, v10, s25, 3
.LBB1_680:                              ;   in Loop: Header=BB1_649 Depth=1
	v_mov_b32_e32 v3, s62
	v_add_co_u32_e32 v0, vcc, s33, v0
	v_addc_co_u32_e32 v1, vcc, v3, v1, vcc
	s_waitcnt vmcnt(0)
	global_store_dword v[0:1], v2, off
.LBB1_681:                              ;   in Loop: Header=BB1_649 Depth=1
	s_or_b64 exec, exec, s[12:13]
	v_mov_b32_e32 v0, s39
	v_add_co_u32_e32 v24, vcc, s38, v8
	v_addc_co_u32_e32 v25, vcc, v9, v0, vcc
	v_lshlrev_b64 v[0:1], 4, v[22:23]
	v_mov_b32_e32 v2, s70
	v_add_co_u32_e32 v26, vcc, s24, v0
	v_addc_co_u32_e32 v27, vcc, v2, v1, vcc
	global_load_dwordx4 v[8:11], v[24:25], off
	global_load_dwordx4 v[0:3], v[26:27], off
	v_add_co_u32_e32 v21, vcc, s30, v20
	s_waitcnt vmcnt(2)
	v_cmp_gt_i32_e32 vcc, 0, v4
	v_cndmask_b32_e64 v23, v32, 0, vcc
	v_xor_b32_e32 v23, v23, v4
	v_and_b32_e32 v23, s19, v23
	v_lshl_add_u32 v24, v21, 2, s36
	v_cmp_le_u32_e32 vcc, v23, v28
	s_and_saveexec_b64 s[12:13], vcc
	s_cbranch_execz .LBB1_689
; %bb.682:                              ;   in Loop: Header=BB1_649 Depth=1
	s_mov_b64 s[16:17], exec
	v_mbcnt_lo_u32_b32 v23, s16, 0
	v_mbcnt_hi_u32_b32 v23, s17, v23
	v_cmp_eq_u32_e32 vcc, 0, v23
                                        ; implicit-def: $vgpr25
	s_and_saveexec_b64 s[14:15], vcc
	s_cbranch_execz .LBB1_684
; %bb.683:                              ;   in Loop: Header=BB1_649 Depth=1
	s_bcnt1_i32_b64 s16, s[16:17]
	v_mov_b32_e32 v25, s16
	global_atomic_add v25, v29, v25, s[28:29] offset:384 glc
.LBB1_684:                              ;   in Loop: Header=BB1_649 Depth=1
	s_or_b64 exec, exec, s[14:15]
	s_waitcnt vmcnt(0)
	v_readfirstlane_b32 s14, v25
	v_add_u32_e32 v26, s14, v23
	v_ashrrev_i32_e32 v27, 31, v26
	v_lshlrev_b64 v[26:27], 2, v[26:27]
	v_mov_b32_e32 v23, s64
	v_add_co_u32_e32 v34, vcc, s63, v26
	v_addc_co_u32_e32 v35, vcc, v23, v27, vcc
	s_and_b64 vcc, exec, s[4:5]
	global_store_dword v[34:35], v4, off
	s_cbranch_vccnz .LBB1_686
; %bb.685:                              ;   in Loop: Header=BB1_649 Depth=1
	v_ashrrev_i32_e32 v25, 31, v24
	v_lshlrev_b64 v[34:35], 2, v[24:25]
	v_mov_b32_e32 v4, s27
	v_add_co_u32_e32 v34, vcc, s26, v34
	v_addc_co_u32_e32 v35, vcc, v4, v35, vcc
	global_load_dword v4, v[34:35], off
	s_cbranch_execz .LBB1_687
	s_branch .LBB1_688
.LBB1_686:                              ;   in Loop: Header=BB1_649 Depth=1
                                        ; implicit-def: $vgpr4
.LBB1_687:                              ;   in Loop: Header=BB1_649 Depth=1
	s_waitcnt vmcnt(0)
	v_add_u32_e32 v4, s25, v24
.LBB1_688:                              ;   in Loop: Header=BB1_649 Depth=1
	v_mov_b32_e32 v23, s62
	v_add_co_u32_e32 v26, vcc, s33, v26
	v_addc_co_u32_e32 v27, vcc, v23, v27, vcc
	s_waitcnt vmcnt(0)
	global_store_dword v[26:27], v4, off
.LBB1_689:                              ;   in Loop: Header=BB1_649 Depth=1
	s_or_b64 exec, exec, s[12:13]
	v_cmp_gt_i32_e32 vcc, 0, v5
	v_cndmask_b32_e64 v4, v32, 0, vcc
	v_xor_b32_e32 v4, v4, v5
	v_and_b32_e32 v4, s19, v4
	v_cmp_le_u32_e32 vcc, v4, v28
	s_and_saveexec_b64 s[12:13], vcc
	s_cbranch_execz .LBB1_697
; %bb.690:                              ;   in Loop: Header=BB1_649 Depth=1
	s_mov_b64 s[16:17], exec
	v_mbcnt_lo_u32_b32 v4, s16, 0
	v_mbcnt_hi_u32_b32 v4, s17, v4
	v_cmp_eq_u32_e32 vcc, 0, v4
                                        ; implicit-def: $vgpr23
	s_and_saveexec_b64 s[14:15], vcc
	s_cbranch_execz .LBB1_692
; %bb.691:                              ;   in Loop: Header=BB1_649 Depth=1
	s_bcnt1_i32_b64 s16, s[16:17]
	v_mov_b32_e32 v23, s16
	global_atomic_add v23, v29, v23, s[28:29] offset:384 glc
.LBB1_692:                              ;   in Loop: Header=BB1_649 Depth=1
	s_or_b64 exec, exec, s[14:15]
	s_waitcnt vmcnt(0)
	v_readfirstlane_b32 s14, v23
	v_add_u32_e32 v26, s14, v4
	v_ashrrev_i32_e32 v27, 31, v26
	v_lshlrev_b64 v[26:27], 2, v[26:27]
	v_mov_b32_e32 v4, s64
	v_add_co_u32_e32 v34, vcc, s63, v26
	v_addc_co_u32_e32 v35, vcc, v4, v27, vcc
	s_and_b64 vcc, exec, s[4:5]
	global_store_dword v[34:35], v5, off
	s_cbranch_vccnz .LBB1_694
; %bb.693:                              ;   in Loop: Header=BB1_649 Depth=1
	v_ashrrev_i32_e32 v25, 31, v24
	v_lshlrev_b64 v[4:5], 2, v[24:25]
	v_mov_b32_e32 v23, s37
	v_add_co_u32_e32 v4, vcc, s31, v4
	v_addc_co_u32_e32 v5, vcc, v23, v5, vcc
	global_load_dword v4, v[4:5], off
	s_cbranch_execz .LBB1_695
	s_branch .LBB1_696
.LBB1_694:                              ;   in Loop: Header=BB1_649 Depth=1
                                        ; implicit-def: $vgpr4
.LBB1_695:                              ;   in Loop: Header=BB1_649 Depth=1
	s_waitcnt vmcnt(0)
	v_add3_u32 v4, v24, s25, 1
.LBB1_696:                              ;   in Loop: Header=BB1_649 Depth=1
	v_mov_b32_e32 v5, s62
	v_add_co_u32_e32 v26, vcc, s33, v26
	v_addc_co_u32_e32 v27, vcc, v5, v27, vcc
	s_waitcnt vmcnt(0)
	global_store_dword v[26:27], v4, off
.LBB1_697:                              ;   in Loop: Header=BB1_649 Depth=1
	s_or_b64 exec, exec, s[12:13]
	v_cmp_gt_i32_e32 vcc, 0, v6
	v_cndmask_b32_e64 v4, v32, 0, vcc
	v_xor_b32_e32 v4, v4, v6
	v_and_b32_e32 v4, s19, v4
	v_cmp_le_u32_e32 vcc, v4, v28
	s_and_saveexec_b64 s[12:13], vcc
	s_cbranch_execz .LBB1_705
; %bb.698:                              ;   in Loop: Header=BB1_649 Depth=1
	s_mov_b64 s[16:17], exec
	v_mbcnt_lo_u32_b32 v4, s16, 0
	v_mbcnt_hi_u32_b32 v4, s17, v4
	v_cmp_eq_u32_e32 vcc, 0, v4
                                        ; implicit-def: $vgpr5
	s_and_saveexec_b64 s[14:15], vcc
	s_cbranch_execz .LBB1_700
; %bb.699:                              ;   in Loop: Header=BB1_649 Depth=1
	s_bcnt1_i32_b64 s16, s[16:17]
	v_mov_b32_e32 v5, s16
	global_atomic_add v5, v29, v5, s[28:29] offset:384 glc
.LBB1_700:                              ;   in Loop: Header=BB1_649 Depth=1
	s_or_b64 exec, exec, s[14:15]
	s_waitcnt vmcnt(0)
	v_readfirstlane_b32 s14, v5
	v_add_u32_e32 v4, s14, v4
	v_ashrrev_i32_e32 v5, 31, v4
	v_lshlrev_b64 v[4:5], 2, v[4:5]
	v_mov_b32_e32 v23, s64
	v_add_co_u32_e32 v26, vcc, s63, v4
	v_addc_co_u32_e32 v27, vcc, v23, v5, vcc
	s_and_b64 vcc, exec, s[4:5]
	global_store_dword v[26:27], v6, off
	s_cbranch_vccnz .LBB1_702
; %bb.701:                              ;   in Loop: Header=BB1_649 Depth=1
	v_ashrrev_i32_e32 v25, 31, v24
	v_lshlrev_b64 v[26:27], 2, v[24:25]
	v_mov_b32_e32 v6, s67
	v_add_co_u32_e32 v26, vcc, s66, v26
	v_addc_co_u32_e32 v27, vcc, v6, v27, vcc
	global_load_dword v6, v[26:27], off
	s_cbranch_execz .LBB1_703
	s_branch .LBB1_704
.LBB1_702:                              ;   in Loop: Header=BB1_649 Depth=1
                                        ; implicit-def: $vgpr6
.LBB1_703:                              ;   in Loop: Header=BB1_649 Depth=1
	s_waitcnt vmcnt(0)
	v_add3_u32 v6, v24, s25, 2
.LBB1_704:                              ;   in Loop: Header=BB1_649 Depth=1
	v_mov_b32_e32 v23, s62
	v_add_co_u32_e32 v4, vcc, s33, v4
	v_addc_co_u32_e32 v5, vcc, v23, v5, vcc
	s_waitcnt vmcnt(0)
	global_store_dword v[4:5], v6, off
.LBB1_705:                              ;   in Loop: Header=BB1_649 Depth=1
	s_or_b64 exec, exec, s[12:13]
	v_cmp_gt_i32_e32 vcc, 0, v7
	v_cndmask_b32_e64 v4, v32, 0, vcc
	v_xor_b32_e32 v4, v4, v7
	v_and_b32_e32 v4, s19, v4
	v_cmp_le_u32_e32 vcc, v4, v28
	s_and_saveexec_b64 s[12:13], vcc
	s_cbranch_execz .LBB1_713
; %bb.706:                              ;   in Loop: Header=BB1_649 Depth=1
	s_mov_b64 s[16:17], exec
	v_mbcnt_lo_u32_b32 v4, s16, 0
	v_mbcnt_hi_u32_b32 v4, s17, v4
	v_cmp_eq_u32_e32 vcc, 0, v4
                                        ; implicit-def: $vgpr5
	s_and_saveexec_b64 s[14:15], vcc
	s_cbranch_execz .LBB1_708
; %bb.707:                              ;   in Loop: Header=BB1_649 Depth=1
	s_bcnt1_i32_b64 s16, s[16:17]
	v_mov_b32_e32 v5, s16
	global_atomic_add v5, v29, v5, s[28:29] offset:384 glc
.LBB1_708:                              ;   in Loop: Header=BB1_649 Depth=1
	s_or_b64 exec, exec, s[14:15]
	s_waitcnt vmcnt(0)
	v_readfirstlane_b32 s14, v5
	v_add_u32_e32 v4, s14, v4
	v_ashrrev_i32_e32 v5, 31, v4
	v_lshlrev_b64 v[4:5], 2, v[4:5]
	v_mov_b32_e32 v6, s64
	v_add_co_u32_e32 v26, vcc, s63, v4
	v_addc_co_u32_e32 v27, vcc, v6, v5, vcc
	s_and_b64 vcc, exec, s[4:5]
	global_store_dword v[26:27], v7, off
	s_cbranch_vccnz .LBB1_710
; %bb.709:                              ;   in Loop: Header=BB1_649 Depth=1
	v_ashrrev_i32_e32 v25, 31, v24
	v_lshlrev_b64 v[6:7], 2, v[24:25]
	v_mov_b32_e32 v23, s69
	v_add_co_u32_e32 v6, vcc, s68, v6
	v_addc_co_u32_e32 v7, vcc, v23, v7, vcc
	global_load_dword v6, v[6:7], off
	s_cbranch_execz .LBB1_711
	s_branch .LBB1_712
.LBB1_710:                              ;   in Loop: Header=BB1_649 Depth=1
                                        ; implicit-def: $vgpr6
.LBB1_711:                              ;   in Loop: Header=BB1_649 Depth=1
	s_waitcnt vmcnt(0)
	v_add3_u32 v6, v24, s25, 3
.LBB1_712:                              ;   in Loop: Header=BB1_649 Depth=1
	v_mov_b32_e32 v7, s62
	v_add_co_u32_e32 v4, vcc, s33, v4
	v_addc_co_u32_e32 v5, vcc, v7, v5, vcc
	s_waitcnt vmcnt(0)
	global_store_dword v[4:5], v6, off
.LBB1_713:                              ;   in Loop: Header=BB1_649 Depth=1
	s_or_b64 exec, exec, s[12:13]
	s_waitcnt vmcnt(1)
	v_cmp_gt_i32_e32 vcc, 0, v8
	v_cndmask_b32_e64 v5, v32, 0, vcc
	v_xor_b32_e32 v5, v5, v8
	v_add_u32_e32 v4, s30, v21
	v_and_b32_e32 v5, s19, v5
	v_lshl_add_u32 v4, v4, 2, s36
	v_cmp_le_u32_e32 vcc, v5, v28
	s_and_saveexec_b64 s[12:13], vcc
	s_cbranch_execz .LBB1_721
; %bb.714:                              ;   in Loop: Header=BB1_649 Depth=1
	s_mov_b64 s[16:17], exec
	v_mbcnt_lo_u32_b32 v5, s16, 0
	v_mbcnt_hi_u32_b32 v5, s17, v5
	v_cmp_eq_u32_e32 vcc, 0, v5
                                        ; implicit-def: $vgpr6
	s_and_saveexec_b64 s[14:15], vcc
	s_cbranch_execz .LBB1_716
; %bb.715:                              ;   in Loop: Header=BB1_649 Depth=1
	s_bcnt1_i32_b64 s16, s[16:17]
	v_mov_b32_e32 v6, s16
	global_atomic_add v6, v29, v6, s[28:29] offset:384 glc
.LBB1_716:                              ;   in Loop: Header=BB1_649 Depth=1
	s_or_b64 exec, exec, s[14:15]
	s_waitcnt vmcnt(0)
	v_readfirstlane_b32 s14, v6
	v_add_u32_e32 v6, s14, v5
	v_ashrrev_i32_e32 v7, 31, v6
	v_lshlrev_b64 v[6:7], 2, v[6:7]
	v_mov_b32_e32 v5, s64
	v_add_co_u32_e32 v24, vcc, s63, v6
	v_addc_co_u32_e32 v25, vcc, v5, v7, vcc
	s_and_b64 vcc, exec, s[4:5]
	global_store_dword v[24:25], v8, off
	s_cbranch_vccnz .LBB1_718
; %bb.717:                              ;   in Loop: Header=BB1_649 Depth=1
	v_ashrrev_i32_e32 v5, 31, v4
	v_lshlrev_b64 v[24:25], 2, v[4:5]
	v_mov_b32_e32 v5, s27
	v_add_co_u32_e32 v24, vcc, s26, v24
	v_addc_co_u32_e32 v25, vcc, v5, v25, vcc
	global_load_dword v5, v[24:25], off
	s_cbranch_execz .LBB1_719
	s_branch .LBB1_720
.LBB1_718:                              ;   in Loop: Header=BB1_649 Depth=1
                                        ; implicit-def: $vgpr5
.LBB1_719:                              ;   in Loop: Header=BB1_649 Depth=1
	s_waitcnt vmcnt(0)
	v_add_u32_e32 v5, s25, v4
.LBB1_720:                              ;   in Loop: Header=BB1_649 Depth=1
	v_mov_b32_e32 v8, s62
	v_add_co_u32_e32 v6, vcc, s33, v6
	v_addc_co_u32_e32 v7, vcc, v8, v7, vcc
	s_waitcnt vmcnt(0)
	global_store_dword v[6:7], v5, off
.LBB1_721:                              ;   in Loop: Header=BB1_649 Depth=1
	s_or_b64 exec, exec, s[12:13]
	v_cmp_gt_i32_e32 vcc, 0, v9
	v_cndmask_b32_e64 v5, v32, 0, vcc
	v_xor_b32_e32 v5, v5, v9
	v_and_b32_e32 v5, s19, v5
	v_cmp_le_u32_e32 vcc, v5, v28
	s_and_saveexec_b64 s[12:13], vcc
	s_cbranch_execz .LBB1_729
; %bb.722:                              ;   in Loop: Header=BB1_649 Depth=1
	s_mov_b64 s[16:17], exec
	v_mbcnt_lo_u32_b32 v5, s16, 0
	v_mbcnt_hi_u32_b32 v5, s17, v5
	v_cmp_eq_u32_e32 vcc, 0, v5
                                        ; implicit-def: $vgpr6
	s_and_saveexec_b64 s[14:15], vcc
	s_cbranch_execz .LBB1_724
; %bb.723:                              ;   in Loop: Header=BB1_649 Depth=1
	s_bcnt1_i32_b64 s16, s[16:17]
	v_mov_b32_e32 v6, s16
	global_atomic_add v6, v29, v6, s[28:29] offset:384 glc
.LBB1_724:                              ;   in Loop: Header=BB1_649 Depth=1
	s_or_b64 exec, exec, s[14:15]
	s_waitcnt vmcnt(0)
	v_readfirstlane_b32 s14, v6
	v_add_u32_e32 v6, s14, v5
	v_ashrrev_i32_e32 v7, 31, v6
	v_lshlrev_b64 v[6:7], 2, v[6:7]
	v_mov_b32_e32 v5, s64
	v_add_co_u32_e32 v24, vcc, s63, v6
	v_addc_co_u32_e32 v25, vcc, v5, v7, vcc
	s_and_b64 vcc, exec, s[4:5]
	global_store_dword v[24:25], v9, off
	s_cbranch_vccnz .LBB1_726
; %bb.725:                              ;   in Loop: Header=BB1_649 Depth=1
	v_ashrrev_i32_e32 v5, 31, v4
	v_lshlrev_b64 v[8:9], 2, v[4:5]
	v_mov_b32_e32 v5, s37
	v_add_co_u32_e32 v8, vcc, s31, v8
	v_addc_co_u32_e32 v9, vcc, v5, v9, vcc
	global_load_dword v5, v[8:9], off
	s_cbranch_execz .LBB1_727
	s_branch .LBB1_728
.LBB1_726:                              ;   in Loop: Header=BB1_649 Depth=1
                                        ; implicit-def: $vgpr5
.LBB1_727:                              ;   in Loop: Header=BB1_649 Depth=1
	s_waitcnt vmcnt(0)
	v_add3_u32 v5, v4, s25, 1
.LBB1_728:                              ;   in Loop: Header=BB1_649 Depth=1
	v_mov_b32_e32 v8, s62
	v_add_co_u32_e32 v6, vcc, s33, v6
	v_addc_co_u32_e32 v7, vcc, v8, v7, vcc
	s_waitcnt vmcnt(0)
	global_store_dword v[6:7], v5, off
.LBB1_729:                              ;   in Loop: Header=BB1_649 Depth=1
	s_or_b64 exec, exec, s[12:13]
	v_cmp_gt_i32_e32 vcc, 0, v10
	v_cndmask_b32_e64 v5, v32, 0, vcc
	v_xor_b32_e32 v5, v5, v10
	v_and_b32_e32 v5, s19, v5
	v_cmp_le_u32_e32 vcc, v5, v28
	s_and_saveexec_b64 s[12:13], vcc
	s_cbranch_execz .LBB1_737
; %bb.730:                              ;   in Loop: Header=BB1_649 Depth=1
	s_mov_b64 s[16:17], exec
	v_mbcnt_lo_u32_b32 v5, s16, 0
	v_mbcnt_hi_u32_b32 v5, s17, v5
	v_cmp_eq_u32_e32 vcc, 0, v5
                                        ; implicit-def: $vgpr6
	s_and_saveexec_b64 s[14:15], vcc
	s_cbranch_execz .LBB1_732
; %bb.731:                              ;   in Loop: Header=BB1_649 Depth=1
	s_bcnt1_i32_b64 s16, s[16:17]
	v_mov_b32_e32 v6, s16
	global_atomic_add v6, v29, v6, s[28:29] offset:384 glc
.LBB1_732:                              ;   in Loop: Header=BB1_649 Depth=1
	s_or_b64 exec, exec, s[14:15]
	s_waitcnt vmcnt(0)
	v_readfirstlane_b32 s14, v6
	v_add_u32_e32 v6, s14, v5
	v_ashrrev_i32_e32 v7, 31, v6
	v_lshlrev_b64 v[6:7], 2, v[6:7]
	v_mov_b32_e32 v5, s64
	v_add_co_u32_e32 v8, vcc, s63, v6
	v_addc_co_u32_e32 v9, vcc, v5, v7, vcc
	s_and_b64 vcc, exec, s[4:5]
	global_store_dword v[8:9], v10, off
	s_cbranch_vccnz .LBB1_734
; %bb.733:                              ;   in Loop: Header=BB1_649 Depth=1
	v_ashrrev_i32_e32 v5, 31, v4
	v_lshlrev_b64 v[8:9], 2, v[4:5]
	v_mov_b32_e32 v5, s67
	v_add_co_u32_e32 v8, vcc, s66, v8
	v_addc_co_u32_e32 v9, vcc, v5, v9, vcc
	global_load_dword v5, v[8:9], off
	s_cbranch_execz .LBB1_735
	s_branch .LBB1_736
.LBB1_734:                              ;   in Loop: Header=BB1_649 Depth=1
                                        ; implicit-def: $vgpr5
.LBB1_735:                              ;   in Loop: Header=BB1_649 Depth=1
	s_waitcnt vmcnt(0)
	v_add3_u32 v5, v4, s25, 2
.LBB1_736:                              ;   in Loop: Header=BB1_649 Depth=1
	v_mov_b32_e32 v8, s62
	v_add_co_u32_e32 v6, vcc, s33, v6
	v_addc_co_u32_e32 v7, vcc, v8, v7, vcc
	s_waitcnt vmcnt(0)
	global_store_dword v[6:7], v5, off
.LBB1_737:                              ;   in Loop: Header=BB1_649 Depth=1
	;; [unrolled: 54-line block ×3, first 2 shown]
	s_or_b64 exec, exec, s[12:13]
	s_waitcnt vmcnt(0)
	v_cmp_gt_i32_e32 vcc, 0, v0
	v_cndmask_b32_e64 v5, v32, 0, vcc
	v_xor_b32_e32 v5, v5, v0
	v_and_b32_e32 v5, s19, v5
	v_lshl_add_u32 v4, v22, 2, s36
	v_cmp_le_u32_e32 vcc, v5, v28
	s_and_saveexec_b64 s[12:13], vcc
	s_cbranch_execz .LBB1_753
; %bb.746:                              ;   in Loop: Header=BB1_649 Depth=1
	s_mov_b64 s[16:17], exec
	v_mbcnt_lo_u32_b32 v5, s16, 0
	v_mbcnt_hi_u32_b32 v5, s17, v5
	v_cmp_eq_u32_e32 vcc, 0, v5
                                        ; implicit-def: $vgpr6
	s_and_saveexec_b64 s[14:15], vcc
	s_cbranch_execz .LBB1_748
; %bb.747:                              ;   in Loop: Header=BB1_649 Depth=1
	s_bcnt1_i32_b64 s16, s[16:17]
	v_mov_b32_e32 v6, s16
	global_atomic_add v6, v29, v6, s[28:29] offset:384 glc
.LBB1_748:                              ;   in Loop: Header=BB1_649 Depth=1
	s_or_b64 exec, exec, s[14:15]
	s_waitcnt vmcnt(0)
	v_readfirstlane_b32 s14, v6
	v_add_u32_e32 v6, s14, v5
	v_ashrrev_i32_e32 v7, 31, v6
	v_lshlrev_b64 v[6:7], 2, v[6:7]
	v_mov_b32_e32 v5, s64
	v_add_co_u32_e32 v8, vcc, s63, v6
	v_addc_co_u32_e32 v9, vcc, v5, v7, vcc
	s_and_b64 vcc, exec, s[4:5]
	global_store_dword v[8:9], v0, off
	s_cbranch_vccnz .LBB1_750
; %bb.749:                              ;   in Loop: Header=BB1_649 Depth=1
	v_ashrrev_i32_e32 v5, 31, v4
	v_lshlrev_b64 v[8:9], 2, v[4:5]
	v_mov_b32_e32 v0, s27
	v_add_co_u32_e32 v8, vcc, s26, v8
	v_addc_co_u32_e32 v9, vcc, v0, v9, vcc
	global_load_dword v0, v[8:9], off
	s_cbranch_execz .LBB1_751
	s_branch .LBB1_752
.LBB1_750:                              ;   in Loop: Header=BB1_649 Depth=1
                                        ; implicit-def: $vgpr0
.LBB1_751:                              ;   in Loop: Header=BB1_649 Depth=1
	s_waitcnt vmcnt(0)
	v_add_u32_e32 v0, s25, v4
.LBB1_752:                              ;   in Loop: Header=BB1_649 Depth=1
	v_mov_b32_e32 v5, s62
	v_add_co_u32_e32 v6, vcc, s33, v6
	v_addc_co_u32_e32 v7, vcc, v5, v7, vcc
	s_waitcnt vmcnt(0)
	global_store_dword v[6:7], v0, off
.LBB1_753:                              ;   in Loop: Header=BB1_649 Depth=1
	s_or_b64 exec, exec, s[12:13]
	v_cmp_gt_i32_e32 vcc, 0, v1
	v_cndmask_b32_e64 v0, v32, 0, vcc
	v_xor_b32_e32 v0, v0, v1
	v_and_b32_e32 v0, s19, v0
	v_cmp_le_u32_e32 vcc, v0, v28
	s_and_saveexec_b64 s[12:13], vcc
	s_cbranch_execz .LBB1_761
; %bb.754:                              ;   in Loop: Header=BB1_649 Depth=1
	s_mov_b64 s[16:17], exec
	v_mbcnt_lo_u32_b32 v0, s16, 0
	v_mbcnt_hi_u32_b32 v0, s17, v0
	v_cmp_eq_u32_e32 vcc, 0, v0
                                        ; implicit-def: $vgpr5
	s_and_saveexec_b64 s[14:15], vcc
	s_cbranch_execz .LBB1_756
; %bb.755:                              ;   in Loop: Header=BB1_649 Depth=1
	s_bcnt1_i32_b64 s16, s[16:17]
	v_mov_b32_e32 v5, s16
	global_atomic_add v5, v29, v5, s[28:29] offset:384 glc
.LBB1_756:                              ;   in Loop: Header=BB1_649 Depth=1
	s_or_b64 exec, exec, s[14:15]
	s_waitcnt vmcnt(0)
	v_readfirstlane_b32 s14, v5
	v_add_u32_e32 v6, s14, v0
	v_ashrrev_i32_e32 v7, 31, v6
	v_lshlrev_b64 v[6:7], 2, v[6:7]
	v_mov_b32_e32 v0, s64
	v_add_co_u32_e32 v8, vcc, s63, v6
	v_addc_co_u32_e32 v9, vcc, v0, v7, vcc
	s_and_b64 vcc, exec, s[4:5]
	global_store_dword v[8:9], v1, off
	s_cbranch_vccnz .LBB1_758
; %bb.757:                              ;   in Loop: Header=BB1_649 Depth=1
	v_ashrrev_i32_e32 v5, 31, v4
	v_lshlrev_b64 v[0:1], 2, v[4:5]
	v_mov_b32_e32 v5, s37
	v_add_co_u32_e32 v0, vcc, s31, v0
	v_addc_co_u32_e32 v1, vcc, v5, v1, vcc
	global_load_dword v0, v[0:1], off
	s_cbranch_execz .LBB1_759
	s_branch .LBB1_760
.LBB1_758:                              ;   in Loop: Header=BB1_649 Depth=1
                                        ; implicit-def: $vgpr0
.LBB1_759:                              ;   in Loop: Header=BB1_649 Depth=1
	s_waitcnt vmcnt(0)
	v_add3_u32 v0, v4, s25, 1
.LBB1_760:                              ;   in Loop: Header=BB1_649 Depth=1
	v_mov_b32_e32 v1, s62
	v_add_co_u32_e32 v6, vcc, s33, v6
	v_addc_co_u32_e32 v7, vcc, v1, v7, vcc
	s_waitcnt vmcnt(0)
	global_store_dword v[6:7], v0, off
.LBB1_761:                              ;   in Loop: Header=BB1_649 Depth=1
	s_or_b64 exec, exec, s[12:13]
	v_cmp_gt_i32_e32 vcc, 0, v2
	v_cndmask_b32_e64 v0, v32, 0, vcc
	v_xor_b32_e32 v0, v0, v2
	v_and_b32_e32 v0, s19, v0
	v_cmp_le_u32_e32 vcc, v0, v28
	s_and_saveexec_b64 s[12:13], vcc
	s_cbranch_execz .LBB1_769
; %bb.762:                              ;   in Loop: Header=BB1_649 Depth=1
	s_mov_b64 s[16:17], exec
	v_mbcnt_lo_u32_b32 v0, s16, 0
	v_mbcnt_hi_u32_b32 v0, s17, v0
	v_cmp_eq_u32_e32 vcc, 0, v0
                                        ; implicit-def: $vgpr1
	s_and_saveexec_b64 s[14:15], vcc
	s_cbranch_execz .LBB1_764
; %bb.763:                              ;   in Loop: Header=BB1_649 Depth=1
	s_bcnt1_i32_b64 s16, s[16:17]
	v_mov_b32_e32 v1, s16
	global_atomic_add v1, v29, v1, s[28:29] offset:384 glc
.LBB1_764:                              ;   in Loop: Header=BB1_649 Depth=1
	s_or_b64 exec, exec, s[14:15]
	s_waitcnt vmcnt(0)
	v_readfirstlane_b32 s14, v1
	v_add_u32_e32 v0, s14, v0
	v_ashrrev_i32_e32 v1, 31, v0
	v_lshlrev_b64 v[0:1], 2, v[0:1]
	v_mov_b32_e32 v5, s64
	v_add_co_u32_e32 v6, vcc, s63, v0
	v_addc_co_u32_e32 v7, vcc, v5, v1, vcc
	s_and_b64 vcc, exec, s[4:5]
	global_store_dword v[6:7], v2, off
	s_cbranch_vccnz .LBB1_766
; %bb.765:                              ;   in Loop: Header=BB1_649 Depth=1
	v_ashrrev_i32_e32 v5, 31, v4
	v_lshlrev_b64 v[6:7], 2, v[4:5]
	v_mov_b32_e32 v2, s67
	v_add_co_u32_e32 v6, vcc, s66, v6
	v_addc_co_u32_e32 v7, vcc, v2, v7, vcc
	global_load_dword v2, v[6:7], off
	s_cbranch_execz .LBB1_767
	s_branch .LBB1_768
.LBB1_766:                              ;   in Loop: Header=BB1_649 Depth=1
                                        ; implicit-def: $vgpr2
.LBB1_767:                              ;   in Loop: Header=BB1_649 Depth=1
	s_waitcnt vmcnt(0)
	v_add3_u32 v2, v4, s25, 2
.LBB1_768:                              ;   in Loop: Header=BB1_649 Depth=1
	v_mov_b32_e32 v5, s62
	v_add_co_u32_e32 v0, vcc, s33, v0
	v_addc_co_u32_e32 v1, vcc, v5, v1, vcc
	s_waitcnt vmcnt(0)
	global_store_dword v[0:1], v2, off
.LBB1_769:                              ;   in Loop: Header=BB1_649 Depth=1
	s_or_b64 exec, exec, s[12:13]
	v_cmp_gt_i32_e32 vcc, 0, v3
	v_cndmask_b32_e64 v0, v32, 0, vcc
	v_xor_b32_e32 v0, v0, v3
	v_and_b32_e32 v0, s19, v0
	v_cmp_le_u32_e32 vcc, v0, v28
	s_and_saveexec_b64 s[12:13], vcc
	s_cbranch_execz .LBB1_648
; %bb.770:                              ;   in Loop: Header=BB1_649 Depth=1
	s_mov_b64 s[16:17], exec
	v_mbcnt_lo_u32_b32 v0, s16, 0
	v_mbcnt_hi_u32_b32 v0, s17, v0
	v_cmp_eq_u32_e32 vcc, 0, v0
                                        ; implicit-def: $vgpr1
	s_and_saveexec_b64 s[14:15], vcc
	s_cbranch_execz .LBB1_772
; %bb.771:                              ;   in Loop: Header=BB1_649 Depth=1
	s_bcnt1_i32_b64 s16, s[16:17]
	v_mov_b32_e32 v1, s16
	global_atomic_add v1, v29, v1, s[28:29] offset:384 glc
.LBB1_772:                              ;   in Loop: Header=BB1_649 Depth=1
	s_or_b64 exec, exec, s[14:15]
	s_waitcnt vmcnt(0)
	v_readfirstlane_b32 s14, v1
	v_add_u32_e32 v0, s14, v0
	v_ashrrev_i32_e32 v1, 31, v0
	v_lshlrev_b64 v[0:1], 2, v[0:1]
	v_mov_b32_e32 v2, s64
	v_add_co_u32_e32 v6, vcc, s63, v0
	v_addc_co_u32_e32 v7, vcc, v2, v1, vcc
	s_and_b64 vcc, exec, s[4:5]
	global_store_dword v[6:7], v3, off
	s_cbranch_vccnz .LBB1_774
; %bb.773:                              ;   in Loop: Header=BB1_649 Depth=1
	v_ashrrev_i32_e32 v5, 31, v4
	v_lshlrev_b64 v[2:3], 2, v[4:5]
	v_mov_b32_e32 v5, s69
	v_add_co_u32_e32 v2, vcc, s68, v2
	v_addc_co_u32_e32 v3, vcc, v5, v3, vcc
	global_load_dword v2, v[2:3], off
	s_cbranch_execnz .LBB1_647
	s_branch .LBB1_646
.LBB1_774:                              ;   in Loop: Header=BB1_649 Depth=1
                                        ; implicit-def: $vgpr2
	s_branch .LBB1_646
.LBB1_775:
	s_or_b64 exec, exec, s[8:9]
	v_mov_b32_e32 v24, v20
.LBB1_776:
	s_or_b64 exec, exec, s[10:11]
	v_cmp_gt_i32_e32 vcc, s34, v24
	s_and_saveexec_b64 s[8:9], vcc
	s_cbranch_execz .LBB1_811
; %bb.777:
	v_cndmask_b32_e64 v0, 0, 1, s[6:7]
	s_lshl_b32 s19, -1, s18
	v_lshl_add_u32 v4, v24, 2, s36
	s_mov_b64 s[10:11], 0
	v_mov_b32_e32 v8, s70
	v_bfrev_b32_e32 v9, -2
	v_mov_b32_e32 v10, 0
	v_cmp_ne_u32_e64 s[4:5], 1, v0
	s_branch .LBB1_781
.LBB1_778:                              ;   in Loop: Header=BB1_781 Depth=1
	s_waitcnt vmcnt(0)
	v_add3_u32 v2, s25, v4, 3
.LBB1_779:                              ;   in Loop: Header=BB1_781 Depth=1
	v_mov_b32_e32 v3, s62
	v_add_co_u32_e32 v0, vcc, s33, v0
	v_addc_co_u32_e32 v1, vcc, v3, v1, vcc
	s_waitcnt vmcnt(0)
	global_store_dword v[0:1], v2, off
.LBB1_780:                              ;   in Loop: Header=BB1_781 Depth=1
	s_or_b64 exec, exec, s[12:13]
	v_add_u32_e32 v24, s30, v24
	v_cmp_le_i32_e32 vcc, s34, v24
	s_or_b64 s[10:11], vcc, s[10:11]
	v_add_u32_e32 v4, s65, v4
	s_andn2_b64 exec, exec, s[10:11]
	s_cbranch_execz .LBB1_811
.LBB1_781:                              ; =>This Inner Loop Header: Depth=1
	v_ashrrev_i32_e32 v25, 31, v24
	v_lshlrev_b64 v[0:1], 4, v[24:25]
	v_add_co_u32_e32 v0, vcc, s24, v0
	v_addc_co_u32_e32 v1, vcc, v8, v1, vcc
	global_load_dwordx4 v[0:3], v[0:1], off
	s_waitcnt vmcnt(0)
	v_cmp_gt_i32_e32 vcc, 0, v0
	v_cndmask_b32_e64 v5, v9, 0, vcc
	v_xor_b32_e32 v5, v5, v0
	v_and_b32_e32 v5, s19, v5
	s_waitcnt lgkmcnt(0)
	v_cmp_le_u32_e32 vcc, v5, v28
	s_and_saveexec_b64 s[12:13], vcc
	s_cbranch_execz .LBB1_789
; %bb.782:                              ;   in Loop: Header=BB1_781 Depth=1
	s_mov_b64 s[16:17], exec
	v_mbcnt_lo_u32_b32 v5, s16, 0
	v_mbcnt_hi_u32_b32 v5, s17, v5
	v_cmp_eq_u32_e32 vcc, 0, v5
                                        ; implicit-def: $vgpr6
	s_and_saveexec_b64 s[14:15], vcc
	s_cbranch_execz .LBB1_784
; %bb.783:                              ;   in Loop: Header=BB1_781 Depth=1
	s_bcnt1_i32_b64 s16, s[16:17]
	v_mov_b32_e32 v6, s16
	global_atomic_add v6, v10, v6, s[28:29] offset:384 glc
.LBB1_784:                              ;   in Loop: Header=BB1_781 Depth=1
	s_or_b64 exec, exec, s[14:15]
	s_waitcnt vmcnt(0)
	v_readfirstlane_b32 s14, v6
	v_add_u32_e32 v6, s14, v5
	v_ashrrev_i32_e32 v7, 31, v6
	v_lshlrev_b64 v[6:7], 2, v[6:7]
	v_mov_b32_e32 v5, s64
	v_add_co_u32_e32 v20, vcc, s63, v6
	v_addc_co_u32_e32 v21, vcc, v5, v7, vcc
	s_and_b64 vcc, exec, s[4:5]
	global_store_dword v[20:21], v0, off
	s_cbranch_vccnz .LBB1_786
; %bb.785:                              ;   in Loop: Header=BB1_781 Depth=1
	v_ashrrev_i32_e32 v5, 31, v4
	v_lshlrev_b64 v[20:21], 2, v[4:5]
	v_mov_b32_e32 v0, s27
	v_add_co_u32_e32 v20, vcc, s26, v20
	v_addc_co_u32_e32 v21, vcc, v0, v21, vcc
	global_load_dword v0, v[20:21], off
	s_cbranch_execz .LBB1_787
	s_branch .LBB1_788
.LBB1_786:                              ;   in Loop: Header=BB1_781 Depth=1
                                        ; implicit-def: $vgpr0
.LBB1_787:                              ;   in Loop: Header=BB1_781 Depth=1
	s_waitcnt vmcnt(0)
	v_add_u32_e32 v0, s25, v4
.LBB1_788:                              ;   in Loop: Header=BB1_781 Depth=1
	v_mov_b32_e32 v5, s62
	v_add_co_u32_e32 v6, vcc, s33, v6
	v_addc_co_u32_e32 v7, vcc, v5, v7, vcc
	s_waitcnt vmcnt(0)
	global_store_dword v[6:7], v0, off
.LBB1_789:                              ;   in Loop: Header=BB1_781 Depth=1
	s_or_b64 exec, exec, s[12:13]
	v_cmp_gt_i32_e32 vcc, 0, v1
	v_cndmask_b32_e64 v0, v9, 0, vcc
	v_xor_b32_e32 v0, v0, v1
	v_and_b32_e32 v0, s19, v0
	v_cmp_le_u32_e32 vcc, v0, v28
	s_and_saveexec_b64 s[12:13], vcc
	s_cbranch_execz .LBB1_797
; %bb.790:                              ;   in Loop: Header=BB1_781 Depth=1
	s_mov_b64 s[16:17], exec
	v_mbcnt_lo_u32_b32 v0, s16, 0
	v_mbcnt_hi_u32_b32 v0, s17, v0
	v_cmp_eq_u32_e32 vcc, 0, v0
                                        ; implicit-def: $vgpr5
	s_and_saveexec_b64 s[14:15], vcc
	s_cbranch_execz .LBB1_792
; %bb.791:                              ;   in Loop: Header=BB1_781 Depth=1
	s_bcnt1_i32_b64 s16, s[16:17]
	v_mov_b32_e32 v5, s16
	global_atomic_add v5, v10, v5, s[28:29] offset:384 glc
.LBB1_792:                              ;   in Loop: Header=BB1_781 Depth=1
	s_or_b64 exec, exec, s[14:15]
	s_waitcnt vmcnt(0)
	v_readfirstlane_b32 s14, v5
	v_add_u32_e32 v6, s14, v0
	v_ashrrev_i32_e32 v7, 31, v6
	v_lshlrev_b64 v[6:7], 2, v[6:7]
	v_mov_b32_e32 v0, s64
	v_add_co_u32_e32 v20, vcc, s63, v6
	v_addc_co_u32_e32 v21, vcc, v0, v7, vcc
	s_and_b64 vcc, exec, s[4:5]
	global_store_dword v[20:21], v1, off
	s_cbranch_vccnz .LBB1_794
; %bb.793:                              ;   in Loop: Header=BB1_781 Depth=1
	v_ashrrev_i32_e32 v5, 31, v4
	v_lshlrev_b64 v[0:1], 2, v[4:5]
	v_mov_b32_e32 v5, s37
	v_add_co_u32_e32 v0, vcc, s31, v0
	v_addc_co_u32_e32 v1, vcc, v5, v1, vcc
	global_load_dword v0, v[0:1], off
	s_cbranch_execz .LBB1_795
	s_branch .LBB1_796
.LBB1_794:                              ;   in Loop: Header=BB1_781 Depth=1
                                        ; implicit-def: $vgpr0
.LBB1_795:                              ;   in Loop: Header=BB1_781 Depth=1
	s_waitcnt vmcnt(0)
	v_add3_u32 v0, s25, v4, 1
.LBB1_796:                              ;   in Loop: Header=BB1_781 Depth=1
	v_mov_b32_e32 v1, s62
	v_add_co_u32_e32 v6, vcc, s33, v6
	v_addc_co_u32_e32 v7, vcc, v1, v7, vcc
	s_waitcnt vmcnt(0)
	global_store_dword v[6:7], v0, off
.LBB1_797:                              ;   in Loop: Header=BB1_781 Depth=1
	s_or_b64 exec, exec, s[12:13]
	v_cmp_gt_i32_e32 vcc, 0, v2
	v_cndmask_b32_e64 v0, v9, 0, vcc
	v_xor_b32_e32 v0, v0, v2
	v_and_b32_e32 v0, s19, v0
	v_cmp_le_u32_e32 vcc, v0, v28
	s_and_saveexec_b64 s[12:13], vcc
	s_cbranch_execz .LBB1_805
; %bb.798:                              ;   in Loop: Header=BB1_781 Depth=1
	s_mov_b64 s[16:17], exec
	v_mbcnt_lo_u32_b32 v0, s16, 0
	v_mbcnt_hi_u32_b32 v0, s17, v0
	v_cmp_eq_u32_e32 vcc, 0, v0
                                        ; implicit-def: $vgpr1
	s_and_saveexec_b64 s[14:15], vcc
	s_cbranch_execz .LBB1_800
; %bb.799:                              ;   in Loop: Header=BB1_781 Depth=1
	s_bcnt1_i32_b64 s16, s[16:17]
	v_mov_b32_e32 v1, s16
	global_atomic_add v1, v10, v1, s[28:29] offset:384 glc
.LBB1_800:                              ;   in Loop: Header=BB1_781 Depth=1
	s_or_b64 exec, exec, s[14:15]
	s_waitcnt vmcnt(0)
	v_readfirstlane_b32 s14, v1
	v_add_u32_e32 v0, s14, v0
	v_ashrrev_i32_e32 v1, 31, v0
	v_lshlrev_b64 v[0:1], 2, v[0:1]
	v_mov_b32_e32 v5, s64
	v_add_co_u32_e32 v6, vcc, s63, v0
	v_addc_co_u32_e32 v7, vcc, v5, v1, vcc
	s_and_b64 vcc, exec, s[4:5]
	global_store_dword v[6:7], v2, off
	s_cbranch_vccnz .LBB1_802
; %bb.801:                              ;   in Loop: Header=BB1_781 Depth=1
	v_ashrrev_i32_e32 v5, 31, v4
	v_lshlrev_b64 v[6:7], 2, v[4:5]
	v_mov_b32_e32 v2, s67
	v_add_co_u32_e32 v6, vcc, s66, v6
	v_addc_co_u32_e32 v7, vcc, v2, v7, vcc
	global_load_dword v2, v[6:7], off
	s_cbranch_execz .LBB1_803
	s_branch .LBB1_804
.LBB1_802:                              ;   in Loop: Header=BB1_781 Depth=1
                                        ; implicit-def: $vgpr2
.LBB1_803:                              ;   in Loop: Header=BB1_781 Depth=1
	s_waitcnt vmcnt(0)
	v_add3_u32 v2, s25, v4, 2
.LBB1_804:                              ;   in Loop: Header=BB1_781 Depth=1
	v_mov_b32_e32 v5, s62
	v_add_co_u32_e32 v0, vcc, s33, v0
	v_addc_co_u32_e32 v1, vcc, v5, v1, vcc
	s_waitcnt vmcnt(0)
	global_store_dword v[0:1], v2, off
.LBB1_805:                              ;   in Loop: Header=BB1_781 Depth=1
	s_or_b64 exec, exec, s[12:13]
	v_cmp_gt_i32_e32 vcc, 0, v3
	v_cndmask_b32_e64 v0, v9, 0, vcc
	v_xor_b32_e32 v0, v0, v3
	v_and_b32_e32 v0, s19, v0
	v_cmp_le_u32_e32 vcc, v0, v28
	s_and_saveexec_b64 s[12:13], vcc
	s_cbranch_execz .LBB1_780
; %bb.806:                              ;   in Loop: Header=BB1_781 Depth=1
	s_mov_b64 s[16:17], exec
	v_mbcnt_lo_u32_b32 v0, s16, 0
	v_mbcnt_hi_u32_b32 v0, s17, v0
	v_cmp_eq_u32_e32 vcc, 0, v0
                                        ; implicit-def: $vgpr1
	s_and_saveexec_b64 s[14:15], vcc
	s_cbranch_execz .LBB1_808
; %bb.807:                              ;   in Loop: Header=BB1_781 Depth=1
	s_bcnt1_i32_b64 s16, s[16:17]
	v_mov_b32_e32 v1, s16
	global_atomic_add v1, v10, v1, s[28:29] offset:384 glc
.LBB1_808:                              ;   in Loop: Header=BB1_781 Depth=1
	s_or_b64 exec, exec, s[14:15]
	s_waitcnt vmcnt(0)
	v_readfirstlane_b32 s14, v1
	v_add_u32_e32 v0, s14, v0
	v_ashrrev_i32_e32 v1, 31, v0
	v_lshlrev_b64 v[0:1], 2, v[0:1]
	v_mov_b32_e32 v2, s64
	v_add_co_u32_e32 v6, vcc, s63, v0
	v_addc_co_u32_e32 v7, vcc, v2, v1, vcc
	s_and_b64 vcc, exec, s[4:5]
	global_store_dword v[6:7], v3, off
	s_cbranch_vccnz .LBB1_810
; %bb.809:                              ;   in Loop: Header=BB1_781 Depth=1
	v_ashrrev_i32_e32 v5, 31, v4
	v_lshlrev_b64 v[2:3], 2, v[4:5]
	v_mov_b32_e32 v5, s69
	v_add_co_u32_e32 v2, vcc, s68, v2
	v_addc_co_u32_e32 v3, vcc, v5, v3, vcc
	global_load_dword v2, v[2:3], off
	s_cbranch_execnz .LBB1_779
	s_branch .LBB1_778
.LBB1_810:                              ;   in Loop: Header=BB1_781 Depth=1
                                        ; implicit-def: $vgpr2
	s_branch .LBB1_778
.LBB1_811:
	s_or_b64 exec, exec, s[8:9]
	s_and_saveexec_b64 s[4:5], s[2:3]
	s_cbranch_execz .LBB1_818
; %bb.812:
	global_load_dword v2, v[16:17], off
	v_bfrev_b32_e32 v0, -2
	s_lshl_b32 s2, -1, s18
	s_waitcnt vmcnt(0)
	v_cmp_gt_i32_e32 vcc, 0, v2
	v_cndmask_b32_e64 v0, v0, 0, vcc
	v_xor_b32_e32 v0, v0, v2
	v_and_b32_e32 v0, s2, v0
	s_waitcnt lgkmcnt(0)
	v_cmp_le_u32_e32 vcc, v0, v28
	s_and_b64 exec, exec, vcc
	s_cbranch_execz .LBB1_818
; %bb.813:
	s_mov_b64 s[8:9], exec
	v_mbcnt_lo_u32_b32 v0, s8, 0
	v_mbcnt_hi_u32_b32 v0, s9, v0
	v_cmp_eq_u32_e32 vcc, 0, v0
                                        ; implicit-def: $vgpr1
	s_and_saveexec_b64 s[2:3], vcc
	s_cbranch_execz .LBB1_815
; %bb.814:
	s_bcnt1_i32_b64 s8, s[8:9]
	v_mov_b32_e32 v1, 0
	v_mov_b32_e32 v3, s8
	global_atomic_add v1, v1, v3, s[28:29] offset:384 glc
.LBB1_815:
	s_or_b64 exec, exec, s[2:3]
	s_waitcnt vmcnt(0)
	v_readfirstlane_b32 s2, v1
	v_add_u32_e32 v0, s2, v0
	v_ashrrev_i32_e32 v1, 31, v0
	v_lshlrev_b64 v[0:1], 2, v[0:1]
	v_mov_b32_e32 v3, s64
	v_add_co_u32_e32 v4, vcc, s63, v0
	v_addc_co_u32_e32 v5, vcc, v3, v1, vcc
	s_andn2_b64 vcc, exec, s[6:7]
	global_store_dword v[4:5], v2, off
	s_cbranch_vccnz .LBB1_817
; %bb.816:
	global_load_dword v51, v[18:19], off
.LBB1_817:
	v_mov_b32_e32 v2, s62
	v_add_co_u32_e32 v0, vcc, s33, v0
	v_addc_co_u32_e32 v1, vcc, v2, v1, vcc
	s_waitcnt vmcnt(0)
	global_store_dword v[0:1], v51, off
.LBB1_818:
	s_or_b64 exec, exec, s[4:5]
	s_and_saveexec_b64 s[2:3], s[0:1]
	s_cbranch_execz .LBB1_825
; %bb.819:
	global_load_dword v2, v[14:15], off
	v_bfrev_b32_e32 v0, -2
	s_lshl_b32 s0, -1, s18
	s_waitcnt vmcnt(0)
	v_cmp_gt_i32_e32 vcc, 0, v2
	v_cndmask_b32_e64 v0, v0, 0, vcc
	v_xor_b32_e32 v0, v0, v2
	v_and_b32_e32 v0, s0, v0
	s_waitcnt lgkmcnt(0)
	v_cmp_le_u32_e32 vcc, v0, v28
	s_and_b64 exec, exec, vcc
	s_cbranch_execz .LBB1_825
; %bb.820:
	s_mov_b64 s[2:3], exec
	v_mbcnt_lo_u32_b32 v0, s2, 0
	v_mbcnt_hi_u32_b32 v0, s3, v0
	v_cmp_eq_u32_e32 vcc, 0, v0
                                        ; implicit-def: $vgpr1
	s_and_saveexec_b64 s[0:1], vcc
	s_cbranch_execz .LBB1_822
; %bb.821:
	s_bcnt1_i32_b64 s2, s[2:3]
	v_mov_b32_e32 v1, 0
	v_mov_b32_e32 v3, s2
	global_atomic_add v1, v1, v3, s[28:29] offset:384 glc
.LBB1_822:
	s_or_b64 exec, exec, s[0:1]
	s_waitcnt vmcnt(0)
	v_readfirstlane_b32 s0, v1
	v_add_u32_e32 v0, s0, v0
	v_ashrrev_i32_e32 v1, 31, v0
	v_lshlrev_b64 v[0:1], 2, v[0:1]
	v_mov_b32_e32 v3, s64
	v_add_co_u32_e32 v4, vcc, s63, v0
	v_addc_co_u32_e32 v5, vcc, v3, v1, vcc
	s_andn2_b64 vcc, exec, s[6:7]
	global_store_dword v[4:5], v2, off
	s_cbranch_vccnz .LBB1_824
; %bb.823:
	global_load_dword v50, v[12:13], off
.LBB1_824:
	v_mov_b32_e32 v2, s62
	v_add_co_u32_e32 v0, vcc, s33, v0
	v_addc_co_u32_e32 v1, vcc, v2, v1, vcc
	s_waitcnt vmcnt(0)
	global_store_dword v[0:1], v50, off
.LBB1_825:
	s_endpgm
	.section	.rodata,"a",@progbits
	.p2align	6, 0x0
	.amdhsa_kernel _ZN5aiter2mb23radix_kernel_persistentIfiLi11ELi1024ELb1ELb0ELNS0_5PhaseE0EEEvPKT_PKT0_PS3_PS6_PNS0_7CounterIS3_S6_EESA_S6_S8_S8_S6_S6_b
		.amdhsa_group_segment_fixed_size 16912
		.amdhsa_private_segment_fixed_size 0
		.amdhsa_kernarg_size 344
		.amdhsa_user_sgpr_count 6
		.amdhsa_user_sgpr_private_segment_buffer 1
		.amdhsa_user_sgpr_dispatch_ptr 0
		.amdhsa_user_sgpr_queue_ptr 0
		.amdhsa_user_sgpr_kernarg_segment_ptr 1
		.amdhsa_user_sgpr_dispatch_id 0
		.amdhsa_user_sgpr_flat_scratch_init 0
		.amdhsa_user_sgpr_kernarg_preload_length 0
		.amdhsa_user_sgpr_kernarg_preload_offset 0
		.amdhsa_user_sgpr_private_segment_size 0
		.amdhsa_uses_dynamic_stack 0
		.amdhsa_system_sgpr_private_segment_wavefront_offset 0
		.amdhsa_system_sgpr_workgroup_id_x 1
		.amdhsa_system_sgpr_workgroup_id_y 1
		.amdhsa_system_sgpr_workgroup_id_z 0
		.amdhsa_system_sgpr_workgroup_info 0
		.amdhsa_system_vgpr_workitem_id 2
		.amdhsa_next_free_vgpr 66
		.amdhsa_next_free_sgpr 95
		.amdhsa_accum_offset 68
		.amdhsa_reserve_vcc 1
		.amdhsa_reserve_flat_scratch 0
		.amdhsa_float_round_mode_32 0
		.amdhsa_float_round_mode_16_64 0
		.amdhsa_float_denorm_mode_32 3
		.amdhsa_float_denorm_mode_16_64 3
		.amdhsa_dx10_clamp 1
		.amdhsa_ieee_mode 1
		.amdhsa_fp16_overflow 0
		.amdhsa_tg_split 0
		.amdhsa_exception_fp_ieee_invalid_op 0
		.amdhsa_exception_fp_denorm_src 0
		.amdhsa_exception_fp_ieee_div_zero 0
		.amdhsa_exception_fp_ieee_overflow 0
		.amdhsa_exception_fp_ieee_underflow 0
		.amdhsa_exception_fp_ieee_inexact 0
		.amdhsa_exception_int_div_zero 0
	.end_amdhsa_kernel
	.section	.text._ZN5aiter2mb23radix_kernel_persistentIfiLi11ELi1024ELb1ELb0ELNS0_5PhaseE0EEEvPKT_PKT0_PS3_PS6_PNS0_7CounterIS3_S6_EESA_S6_S8_S8_S6_S6_b,"axG",@progbits,_ZN5aiter2mb23radix_kernel_persistentIfiLi11ELi1024ELb1ELb0ELNS0_5PhaseE0EEEvPKT_PKT0_PS3_PS6_PNS0_7CounterIS3_S6_EESA_S6_S8_S8_S6_S6_b,comdat
.Lfunc_end1:
	.size	_ZN5aiter2mb23radix_kernel_persistentIfiLi11ELi1024ELb1ELb0ELNS0_5PhaseE0EEEvPKT_PKT0_PS3_PS6_PNS0_7CounterIS3_S6_EESA_S6_S8_S8_S6_S6_b, .Lfunc_end1-_ZN5aiter2mb23radix_kernel_persistentIfiLi11ELi1024ELb1ELb0ELNS0_5PhaseE0EEEvPKT_PKT0_PS3_PS6_PNS0_7CounterIS3_S6_EESA_S6_S8_S8_S6_S6_b
                                        ; -- End function
	.section	.AMDGPU.csdata,"",@progbits
; Kernel info:
; codeLenInByte = 23480
; NumSgprs: 99
; NumVgprs: 66
; NumAgprs: 0
; TotalNumVgprs: 66
; ScratchSize: 0
; MemoryBound: 0
; FloatMode: 240
; IeeeMode: 1
; LDSByteSize: 16912 bytes/workgroup (compile time only)
; SGPRBlocks: 12
; VGPRBlocks: 8
; NumSGPRsForWavesPerEU: 99
; NumVGPRsForWavesPerEU: 66
; AccumOffset: 68
; Occupancy: 7
; WaveLimiterHint : 0
; COMPUTE_PGM_RSRC2:SCRATCH_EN: 0
; COMPUTE_PGM_RSRC2:USER_SGPR: 6
; COMPUTE_PGM_RSRC2:TRAP_HANDLER: 0
; COMPUTE_PGM_RSRC2:TGID_X_EN: 1
; COMPUTE_PGM_RSRC2:TGID_Y_EN: 1
; COMPUTE_PGM_RSRC2:TGID_Z_EN: 0
; COMPUTE_PGM_RSRC2:TIDIG_COMP_CNT: 2
; COMPUTE_PGM_RSRC3_GFX90A:ACCUM_OFFSET: 16
; COMPUTE_PGM_RSRC3_GFX90A:TG_SPLIT: 0
	.section	.text._ZN5aiter2mb23radix_kernel_persistentIfiLi10ELi1024ELb1ELb0ELNS0_5PhaseE0EEEvPKT_PKT0_PS3_PS6_PNS0_7CounterIS3_S6_EESA_S6_S8_S8_S6_S6_b,"axG",@progbits,_ZN5aiter2mb23radix_kernel_persistentIfiLi10ELi1024ELb1ELb0ELNS0_5PhaseE0EEEvPKT_PKT0_PS3_PS6_PNS0_7CounterIS3_S6_EESA_S6_S8_S8_S6_S6_b,comdat
	.protected	_ZN5aiter2mb23radix_kernel_persistentIfiLi10ELi1024ELb1ELb0ELNS0_5PhaseE0EEEvPKT_PKT0_PS3_PS6_PNS0_7CounterIS3_S6_EESA_S6_S8_S8_S6_S6_b ; -- Begin function _ZN5aiter2mb23radix_kernel_persistentIfiLi10ELi1024ELb1ELb0ELNS0_5PhaseE0EEEvPKT_PKT0_PS3_PS6_PNS0_7CounterIS3_S6_EESA_S6_S8_S8_S6_S6_b
	.globl	_ZN5aiter2mb23radix_kernel_persistentIfiLi10ELi1024ELb1ELb0ELNS0_5PhaseE0EEEvPKT_PKT0_PS3_PS6_PNS0_7CounterIS3_S6_EESA_S6_S8_S8_S6_S6_b
	.p2align	8
	.type	_ZN5aiter2mb23radix_kernel_persistentIfiLi10ELi1024ELb1ELb0ELNS0_5PhaseE0EEEvPKT_PKT0_PS3_PS6_PNS0_7CounterIS3_S6_EESA_S6_S8_S8_S6_S6_b,@function
_ZN5aiter2mb23radix_kernel_persistentIfiLi10ELi1024ELb1ELb0ELNS0_5PhaseE0EEEvPKT_PKT0_PS3_PS6_PNS0_7CounterIS3_S6_EESA_S6_S8_S8_S6_S6_b: ; @_ZN5aiter2mb23radix_kernel_persistentIfiLi10ELi1024ELb1ELb0ELNS0_5PhaseE0EEEvPKT_PKT0_PS3_PS6_PNS0_7CounterIS3_S6_EESA_S6_S8_S8_S6_S6_b
; %bb.0:
	s_load_dwordx4 s[0:3], s[4:5], 0x38
	s_load_dword s12, s[4:5], 0x30
	s_mov_b32 s20, 0
	s_mov_b32 s8, s7
	;; [unrolled: 1-line block ×3, first 2 shown]
	s_waitcnt lgkmcnt(0)
	s_cmp_lg_u64 s[0:1], 0
	s_cselect_b64 s[10:11], -1, 0
	s_cmp_eq_u64 s[0:1], 0
	s_cselect_b64 s[14:15], -1, 0
	s_cmp_eq_u64 s[2:3], 0
	s_cselect_b64 s[16:17], -1, 0
	s_or_b64 s[14:15], s[14:15], s[16:17]
	s_and_b64 vcc, exec, s[14:15]
	s_mov_b32 s7, s12
	s_cbranch_vccnz .LBB2_2
; %bb.1:
	s_lshl_b64 s[14:15], s[8:9], 2
	s_add_u32 s16, s0, s14
	s_addc_u32 s17, s1, s15
	s_add_u32 s2, s2, s14
	s_addc_u32 s3, s3, s15
	s_load_dword s7, s[2:3], 0x0
	s_load_dword s13, s[16:17], 0x0
	s_waitcnt lgkmcnt(0)
	s_sub_i32 s7, s7, s13
.LBB2_2:
	s_andn2_b64 vcc, exec, s[10:11]
	s_cbranch_vccnz .LBB2_4
; %bb.3:
	s_lshl_b64 s[2:3], s[8:9], 2
	s_add_u32 s0, s0, s2
	s_addc_u32 s1, s1, s3
	s_load_dword s20, s[0:1], 0x0
.LBB2_4:
	s_load_dword s71, s[4:5], 0x48
	s_load_dword s2, s[4:5], 0x64
	s_add_u32 s38, s4, 0x58
	v_and_b32_e32 v26, 0x3ff, v0
	s_addc_u32 s39, s5, 0
	v_cmp_eq_u32_e64 s[18:19], 0, v26
	s_and_saveexec_b64 s[0:1], s[18:19]
	s_cbranch_execz .LBB2_6
; %bb.5:
	v_mov_b32_e32 v2, 0
	s_waitcnt lgkmcnt(0)
	v_mov_b32_e32 v3, s71
	v_mov_b32_e32 v4, s7
	ds_write_b96 v2, v[2:4] offset:8576
.LBB2_6:
	s_or_b64 exec, exec, s[0:1]
	s_load_dword s77, s[4:5], 0x58
	s_load_dwordx8 s[40:47], s[4:5], 0x0
	s_ashr_i32 s0, s12, 31
	s_mul_hi_u32 s1, s12, s8
	s_mul_i32 s0, s0, s8
	s_add_i32 s1, s1, s0
	s_mul_i32 s0, s12, s8
	s_lshl_b64 s[0:1], s[0:1], 2
	s_waitcnt lgkmcnt(0)
	s_add_u32 s3, s40, s0
	s_addc_u32 s12, s41, s1
	s_ashr_i32 s21, s20, 31
	s_lshl_b64 s[10:11], s[20:21], 2
	s_add_u32 s26, s3, s10
	s_addc_u32 s27, s12, s11
	s_add_u32 s0, s42, s0
	s_addc_u32 s1, s43, s1
	;; [unrolled: 2-line block ×3, first 2 shown]
	s_cmp_lg_u64 s[42:43], 0
	s_cselect_b32 s23, s1, 0
	s_cselect_b32 s22, s0, 0
	s_ashr_i32 s0, s71, 31
	s_mul_hi_u32 s1, s71, s8
	s_mul_i32 s0, s0, s8
	s_add_i32 s1, s1, s0
	s_mul_i32 s0, s71, s8
	s_lshl_b64 s[0:1], s[0:1], 2
	s_add_u32 s60, s44, s0
	s_addc_u32 s61, s45, s1
	s_add_u32 s21, s46, s0
	s_addc_u32 s33, s47, s1
	s_and_b32 s72, 0xffff, s2
	s_cmp_le_i32 s7, s71
	s_mov_b64 s[0:1], -1
	s_barrier
	s_cbranch_scc0 .LBB2_18
; %bb.7:
	s_cmp_eq_u32 s6, 0
	s_cselect_b64 s[0:1], -1, 0
	v_cmp_gt_i32_e32 vcc, s71, v26
	s_and_b64 s[0:1], s[0:1], vcc
	s_and_saveexec_b64 s[10:11], s[0:1]
	s_cbranch_execz .LBB2_17
; %bb.8:
	s_cmp_lg_u64 s[22:23], 0
	s_cselect_b64 s[0:1], -1, 0
	v_cndmask_b32_e64 v1, 0, 1, s[0:1]
	s_mov_b64 s[12:13], 0
	v_cmp_ne_u32_e64 s[0:1], 1, v1
	v_mov_b32_e32 v1, s33
	v_mov_b32_e32 v6, s61
	;; [unrolled: 1-line block ×3, first 2 shown]
	s_branch .LBB2_10
.LBB2_9:                                ;   in Loop: Header=BB2_10 Depth=1
	s_or_b64 exec, exec, s[14:15]
	v_add_co_u32_e32 v4, vcc, s60, v4
	v_addc_co_u32_e32 v5, vcc, v6, v5, vcc
	v_add_u32_e32 v2, s72, v2
	v_cmp_le_i32_e32 vcc, s71, v2
	s_or_b64 s[12:13], vcc, s[12:13]
	s_waitcnt vmcnt(0)
	global_store_dword v[4:5], v3, off
	s_andn2_b64 exec, exec, s[12:13]
	s_cbranch_execz .LBB2_17
.LBB2_10:                               ; =>This Inner Loop Header: Depth=1
	v_cmp_gt_i32_e64 s[2:3], s7, v2
	v_mov_b32_e32 v7, -1
	s_and_saveexec_b64 s[14:15], s[2:3]
	s_cbranch_execz .LBB2_14
; %bb.11:                               ;   in Loop: Header=BB2_10 Depth=1
	s_and_b64 vcc, exec, s[0:1]
	s_cbranch_vccnz .LBB2_16
; %bb.12:                               ;   in Loop: Header=BB2_10 Depth=1
	v_ashrrev_i32_e32 v3, 31, v2
	v_lshlrev_b64 v[4:5], 2, v[2:3]
	v_mov_b32_e32 v3, s23
	v_add_co_u32_e32 v4, vcc, s22, v4
	v_addc_co_u32_e32 v5, vcc, v3, v5, vcc
	global_load_dword v7, v[4:5], off
	s_cbranch_execnz .LBB2_14
.LBB2_13:                               ;   in Loop: Header=BB2_10 Depth=1
	s_waitcnt vmcnt(0)
	v_add_u32_e32 v7, s20, v2
.LBB2_14:                               ;   in Loop: Header=BB2_10 Depth=1
	s_or_b64 exec, exec, s[14:15]
	v_ashrrev_i32_e32 v3, 31, v2
	v_lshlrev_b64 v[4:5], 2, v[2:3]
	v_add_co_u32_e32 v8, vcc, s21, v4
	v_addc_co_u32_e32 v9, vcc, v1, v5, vcc
	v_mov_b32_e32 v3, 0
	s_waitcnt vmcnt(0)
	global_store_dword v[8:9], v7, off
	s_and_saveexec_b64 s[14:15], s[2:3]
	s_cbranch_execz .LBB2_9
; %bb.15:                               ;   in Loop: Header=BB2_10 Depth=1
	v_mov_b32_e32 v3, s27
	v_add_co_u32_e32 v8, vcc, s26, v4
	v_addc_co_u32_e32 v9, vcc, v3, v5, vcc
	global_load_dword v3, v[8:9], off
	s_branch .LBB2_9
.LBB2_16:                               ;   in Loop: Header=BB2_10 Depth=1
                                        ; implicit-def: $vgpr7
	s_branch .LBB2_13
.LBB2_17:
	s_or_b64 exec, exec, s[10:11]
	s_mov_b64 s[0:1], 0
.LBB2_18:
	s_andn2_b64 vcc, exec, s[0:1]
	s_cbranch_vccnz .LBB2_823
; %bb.19:
	s_load_dwordx4 s[0:3], s[4:5], 0x20
	s_mul_i32 s5, s8, 0x300
	s_mul_hi_u32 s4, s8, 0x300
	v_mov_b32_e32 v29, 0
	v_mov_b32_e32 v27, v29
	s_waitcnt lgkmcnt(0)
	s_add_u32 s24, s0, s5
	s_addc_u32 s25, s1, s4
	s_lshl_b64 s[0:1], s[8:9], 14
	s_add_u32 s42, s2, s0
	v_mov_b32_e32 v1, s6
	s_addc_u32 s43, s3, s1
	v_mad_u64_u32 v[24:25], s[0:1], s72, v1, v[26:27]
	s_and_b32 s40, s26, 15
	s_sub_i32 s0, 16, s40
	s_mov_b32 s41, 0
	s_lshr_b32 s0, s0, 2
	s_cmp_lg_u64 s[40:41], 0
	s_cselect_b32 s0, s0, 0
	s_min_i32 s34, s0, s7
	s_ashr_i32 s35, s34, 31
	s_lshl_b64 s[0:1], s[34:35], 2
	s_add_u32 s62, s26, s0
	s_addc_u32 s68, s27, s1
	s_sub_i32 s0, s7, s34
	s_ashr_i32 s1, s0, 31
	s_lshr_b32 s1, s1, 30
	s_mul_hi_u32 s29, s72, s77
	s_mul_i32 s28, s72, s77
	s_add_i32 s8, s0, s1
	s_ashr_i32 s30, s8, 2
	s_mul_i32 s2, s29, 3
	s_mul_hi_u32 s0, s28, 3
	s_lshl_b32 s63, s28, 2
	s_add_i32 s69, s0, s2
	s_ashr_i32 s31, s30, 31
	s_lshl_b64 s[36:37], s[28:29], 4
	s_add_u32 s73, s62, s36
	s_addc_u32 s74, s68, s37
	v_ashrrev_i32_e32 v21, 31, v24
	v_mov_b32_e32 v20, v24
	v_mad_u64_u32 v[22:23], s[0:1], s28, 3, v[20:21]
	s_add_u32 s75, s73, s36
	s_addc_u32 s76, s74, s37
	s_and_b32 s0, s8, -4
	v_lshlrev_b64 v[4:5], 2, v[24:25]
	s_add_i32 s0, s0, s34
	v_mov_b32_e32 v1, s27
	v_add_co_u32_e32 v18, vcc, s26, v4
	v_add_u32_e32 v4, s0, v24
	v_addc_co_u32_e32 v19, vcc, v1, v5, vcc
	v_ashrrev_i32_e32 v5, 31, v4
	v_add_u32_e32 v23, s2, v23
	v_cmp_gt_u64_e64 s[2:3], s[34:35], v[24:25]
	v_lshlrev_b64 v[6:7], 2, v[4:5]
	v_bfe_u32 v25, v0, 20, 10
	v_bfe_u32 v27, v0, 10, 10
	v_lshrrev_b32_e32 v0, 3, v26
	v_add_co_u32_e32 v14, vcc, s26, v6
	v_lshlrev_b32_e32 v30, 2, v26
	v_and_b32_e32 v0, 0x7c, v0
	v_addc_co_u32_e32 v15, vcc, v1, v7, vcc
	v_add_u32_e32 v50, v30, v0
	v_lshlrev_b32_e32 v0, 4, v26
	v_lshrrev_b32_e32 v1, 1, v26
	v_mov_b32_e32 v2, v29
	v_mov_b32_e32 v3, v24
	v_add_lshl_u32 v51, v1, v0, 2
	v_or_b32_e32 v0, s6, v26
	v_cmp_eq_u32_e64 s[10:11], 0, v0
	v_ashrrev_i64 v[0:1], 30, v[2:3]
	v_mov_b32_e32 v2, s23
	v_add_co_u32_e32 v16, vcc, s22, v0
	v_addc_co_u32_e32 v17, vcc, v2, v1, vcc
	v_cvt_f32_u32_e32 v1, s72
	s_add_i32 s77, s77, -1
	s_lshl_b32 s78, s72, 8
	v_add_co_u32_e32 v12, vcc, s22, v6
	v_rcp_iflag_f32_e32 v1, v1
	s_cmp_eq_u64 s[22:23], 0
	v_addc_co_u32_e32 v13, vcc, v2, v7, vcc
	v_mul_f32_e32 v1, 0x4f7ffffe, v1
	v_add_u32_e32 v0, s72, v26
	s_movk_i32 s6, 0x400
	v_cvt_u32_f32_e32 v1, v1
	s_cselect_b64 s[44:45], -1, 0
	s_cmp_lg_u64 s[22:23], 0
	v_mov_b32_e32 v3, s72
	v_cmp_gt_u32_e32 vcc, s6, v0
	v_cmp_gt_i32_e64 s[0:1], s7, v4
	s_cselect_b64 s[26:27], -1, 0
	v_max_u32_e32 v2, 0x400, v0
	v_addc_co_u32_e64 v0, s[6:7], v26, v3, vcc
	s_cmp_eq_u32 s72, 1
	s_cselect_b64 s[12:13], -1, 0
	s_sub_i32 s6, 0, s72
	v_sub_u32_e32 v0, v2, v0
	v_mul_lo_u32 v2, s6, v1
	v_mul_hi_u32 v2, v1, v2
	v_add_u32_e32 v1, v1, v2
	v_mul_hi_u32 v1, v0, v1
	v_mul_lo_u32 v2, v1, s72
	v_sub_u32_e32 v0, v0, v2
	v_add_u32_e32 v2, 1, v1
	v_cmp_le_u32_e64 s[6:7], s72, v0
	v_cndmask_b32_e64 v1, v1, v2, s[6:7]
	v_subrev_u32_e32 v2, s72, v0
	v_cndmask_b32_e64 v0, v0, v2, s[6:7]
	v_add_u32_e32 v2, 1, v1
	v_cmp_le_u32_e64 s[6:7], s72, v0
	v_cndmask_b32_e64 v0, v1, v2, s[6:7]
	v_addc_co_u32_e64 v1, s[6:7], 1, v0, vcc
	v_cmp_lt_u32_e64 s[6:7], 1, v1
	s_and_b64 s[46:47], s[6:7], s[12:13]
	s_lshl_b32 s79, s72, 1
	s_add_u32 s29, s22, 4
	v_addc_co_u32_e32 v0, vcc, -1, v0, vcc
	s_addc_u32 s35, s23, 0
	v_lshrrev_b32_e32 v3, 1, v0
	s_add_u32 s64, s22, 8
	v_add_u32_e32 v3, 1, v3
	v_cmp_lt_u32_e64 s[12:13], 13, v0
	s_addc_u32 s65, s23, 0
	v_mov_b32_e32 v0, s43
	v_add_co_u32_e32 v36, vcc, s42, v30
	s_mov_b64 s[8:9], src_shared_base
	v_and_b32_e32 v2, -2, v1
	v_and_b32_e32 v52, 7, v3
	s_add_u32 s66, s22, 12
	v_addc_co_u32_e32 v37, vcc, 0, v0, vcc
	v_mbcnt_lo_u32_b32 v0, -1, 0
	s_mul_i32 s70, s28, 3
	v_cmp_gt_u64_e64 s[4:5], s[30:31], v[22:23]
	v_add_u32_e32 v32, 0x1080, v30
	v_mov_b32_e32 v33, s9
	v_cmp_gt_u32_e64 s[8:9], 64, v26
	v_add_u32_e32 v49, s20, v24
	v_add_u32_e32 v48, s20, v4
	v_mad_u64_u32 v[34:35], s[6:7], v2, s72, v[26:27]
	v_and_b32_e32 v53, -8, v3
	v_cmp_ne_u32_e64 s[14:15], 0, v52
	v_cmp_ne_u32_e64 s[16:17], v1, v2
	s_addc_u32 s67, s23, 0
	s_lshl_b32 s80, s72, 6
	s_lshl_b32 s81, s72, 3
	;; [unrolled: 1-line block ×3, first 2 shown]
	v_mov_b32_e32 v31, v29
	s_mov_b32 s83, s41
	s_lshl_b32 s84, s72, 4
	s_mul_i32 s85, s72, 6
	s_mul_i32 s86, s72, 10
	;; [unrolled: 1-line block ×4, first 2 shown]
	v_add_u32_e32 v54, 0x107c, v30
	v_mov_b32_e32 v55, 0x2184
	s_movk_i32 s89, 0x3ff
	v_mov_b32_e32 v56, 1
	v_bfrev_b32_e32 v57, -2
	v_mbcnt_hi_u32_b32 v58, -1, v0
	v_mov_b32_e32 v59, 0x1080
	s_mov_b64 s[48:49], s[42:43]
	s_mov_b32 s90, 0
	s_branch .LBB2_22
.LBB2_20:                               ;   in Loop: Header=BB2_22 Depth=1
	s_mov_b64 s[6:7], -1
	s_mov_b64 s[50:51], -1
                                        ; implicit-def: $sgpr90
                                        ; implicit-def: $vgpr36_vgpr37
                                        ; implicit-def: $sgpr48_sgpr49
                                        ; implicit-def: $sgpr91
.LBB2_21:                               ;   in Loop: Header=BB2_22 Depth=1
	s_and_b64 vcc, exec, s[50:51]
	s_cbranch_vccnz .LBB2_641
.LBB2_22:                               ; =>This Loop Header: Depth=1
                                        ;     Child Loop BB2_26 Depth 2
                                        ;     Child Loop BB2_30 Depth 2
	;; [unrolled: 1-line block ×15, first 2 shown]
	s_waitcnt lgkmcnt(0)
	ds_read2_b32 v[38:39], v55 offset1:1
	s_waitcnt lgkmcnt(0)
	v_cmp_eq_u32_e32 vcc, 0, v39
	s_cbranch_vccnz .LBB2_20
; %bb.23:                               ;   in Loop: Header=BB2_22 Depth=1
	s_mov_b64 s[50:51], -1
	v_mov_b32_e32 v0, v26
	v_mov_b32_e32 v1, v30
	s_and_saveexec_b64 s[6:7], s[46:47]
	s_cbranch_execz .LBB2_34
; %bb.24:                               ;   in Loop: Header=BB2_22 Depth=1
	v_mov_b32_e32 v2, 0
	s_and_saveexec_b64 s[50:51], s[12:13]
	s_cbranch_execz .LBB2_28
; %bb.25:                               ;   in Loop: Header=BB2_22 Depth=1
	s_mov_b32 s40, 0
	s_mov_b64 s[52:53], 0
	v_mov_b32_e32 v0, v53
	v_mov_b32_e32 v1, v32
.LBB2_26:                               ;   Parent Loop BB2_22 Depth=1
                                        ; =>  This Inner Loop Header: Depth=2
	v_add_u32_e32 v2, s81, v1
	s_waitcnt vmcnt(0)
	v_add_u32_e32 v3, s81, v2
	ds_write2_b32 v1, v29, v29 offset1:1
	ds_write2_b32 v2, v29, v29 offset1:1
	ds_write2_b32 v3, v29, v29 offset1:1
	v_add_u32_e32 v3, s81, v3
	ds_write2_b32 v3, v29, v29 offset1:1
	v_add_u32_e32 v3, s81, v3
	v_add_u32_e32 v0, -8, v0
	ds_write2_b32 v3, v29, v29 offset1:1
	v_add_u32_e32 v3, s81, v3
	s_add_i32 s40, s40, 16
	v_cmp_eq_u32_e32 vcc, 0, v0
	ds_write2_b32 v3, v29, v29 offset1:1
	v_add_u32_e32 v3, s81, v3
	v_add_u32_e32 v1, s80, v1
	v_mov_b32_e32 v2, s40
	s_or_b64 s[52:53], vcc, s[52:53]
	ds_write2_b32 v3, v29, v29 offset1:1
	v_add_u32_e32 v3, s81, v3
	ds_write2_b32 v3, v29, v29 offset1:1
	s_andn2_b64 exec, exec, s[52:53]
	s_cbranch_execnz .LBB2_26
; %bb.27:                               ;   in Loop: Header=BB2_22 Depth=1
	s_or_b64 exec, exec, s[52:53]
.LBB2_28:                               ;   in Loop: Header=BB2_22 Depth=1
	s_or_b64 exec, exec, s[50:51]
	s_and_saveexec_b64 s[50:51], s[14:15]
	s_cbranch_execz .LBB2_31
; %bb.29:                               ;   in Loop: Header=BB2_22 Depth=1
	v_mad_u64_u32 v[0:1], s[52:53], s82, v2, v[32:33]
	s_mov_b64 s[52:53], 0
	v_mov_b32_e32 v1, v52
.LBB2_30:                               ;   Parent Loop BB2_22 Depth=1
                                        ; =>  This Inner Loop Header: Depth=2
	v_add_u32_e32 v1, -1, v1
	v_cmp_eq_u32_e32 vcc, 0, v1
	ds_write2_b32 v0, v29, v29 offset1:1
	s_or_b64 s[52:53], vcc, s[52:53]
	v_add_u32_e32 v0, s81, v0
	s_andn2_b64 exec, exec, s[52:53]
	s_cbranch_execnz .LBB2_30
.LBB2_31:                               ;   in Loop: Header=BB2_22 Depth=1
	s_or_b64 exec, exec, s[50:51]
	s_mov_b64 s[50:51], 0
                                        ; implicit-def: $vgpr1
	s_and_saveexec_b64 s[52:53], s[16:17]
	s_xor_b64 s[52:53], exec, s[52:53]
; %bb.32:                               ;   in Loop: Header=BB2_22 Depth=1
	s_mov_b64 s[50:51], exec
	v_lshlrev_b32_e32 v1, 2, v34
; %bb.33:                               ;   in Loop: Header=BB2_22 Depth=1
	s_or_b64 exec, exec, s[52:53]
	s_orn2_b64 s[50:51], s[50:51], exec
	v_mov_b32_e32 v0, v34
.LBB2_34:                               ;   in Loop: Header=BB2_22 Depth=1
	s_or_b64 exec, exec, s[6:7]
	s_and_saveexec_b64 s[6:7], s[50:51]
	s_cbranch_execz .LBB2_37
; %bb.35:                               ;   in Loop: Header=BB2_22 Depth=1
	v_add_u32_e32 v1, 0x1080, v1
	s_mov_b64 s[50:51], 0
.LBB2_36:                               ;   Parent Loop BB2_22 Depth=1
                                        ; =>  This Inner Loop Header: Depth=2
	v_add_u32_e32 v0, s72, v0
	v_cmp_lt_u32_e32 vcc, s89, v0
	ds_write_b32 v1, v29
	s_or_b64 s[50:51], vcc, s[50:51]
	v_add_u32_e32 v1, s82, v1
	s_andn2_b64 exec, exec, s[50:51]
	s_cbranch_execnz .LBB2_36
.LBB2_37:                               ;   in Loop: Header=BB2_22 Depth=1
	s_or_b64 exec, exec, s[6:7]
	v_cmp_ne_u32_e32 vcc, v39, v38
	s_mul_i32 s91, s90, -10
	s_waitcnt lgkmcnt(0)
	s_barrier
	s_cbranch_vccz .LBB2_74
; %bb.38:                               ;   in Loop: Header=BB2_22 Depth=1
	s_max_i32 s56, s91, 0xffffffea
	s_add_i32 s56, s56, 22
	s_cmp_lg_u32 s90, 0
	s_cbranch_scc0 .LBB2_75
; %bb.39:                               ;   in Loop: Header=BB2_22 Depth=1
	ds_read_b32 v28, v29 offset:8576
	s_add_i32 s40, s91, 32
	v_mov_b32_e32 v40, v24
	s_and_saveexec_b64 s[6:7], s[4:5]
	s_cbranch_execz .LBB2_77
; %bb.40:                               ;   in Loop: Header=BB2_22 Depth=1
	s_lshl_b32 s54, -1, s40
	s_mov_b64 s[50:51], 0
	v_pk_mov_b32 v[8:9], v[22:23], v[22:23] op_sel:[0,1]
	v_pk_mov_b32 v[40:41], v[20:21], v[20:21] op_sel:[0,1]
	s_branch .LBB2_42
.LBB2_41:                               ;   in Loop: Header=BB2_42 Depth=2
	s_or_b64 exec, exec, s[52:53]
	v_add_u32_e32 v40, s63, v40
	v_ashrrev_i32_e32 v41, 31, v40
	v_mov_b32_e32 v0, s69
	v_add_co_u32_e32 v8, vcc, s70, v40
	v_addc_co_u32_e32 v9, vcc, v0, v41, vcc
	v_cmp_le_u64_e32 vcc, s[30:31], v[8:9]
	s_or_b64 s[50:51], vcc, s[50:51]
	s_andn2_b64 exec, exec, s[50:51]
	s_cbranch_execz .LBB2_76
.LBB2_42:                               ;   Parent Loop BB2_22 Depth=1
                                        ; =>  This Inner Loop Header: Depth=2
	v_lshlrev_b64 v[10:11], 4, v[40:41]
	v_mov_b32_e32 v1, s68
	v_add_co_u32_e32 v0, vcc, s62, v10
	v_addc_co_u32_e32 v1, vcc, v1, v11, vcc
	global_load_dwordx4 v[0:3], v[0:1], off
	s_waitcnt vmcnt(1)
	v_mov_b32_e32 v5, s74
	v_add_co_u32_e32 v4, vcc, s73, v10
	v_addc_co_u32_e32 v5, vcc, v5, v11, vcc
	global_load_dwordx4 v[4:7], v[4:5], off
	s_waitcnt vmcnt(1)
	v_cmp_gt_i32_e32 vcc, 0, v0
	v_cndmask_b32_e64 v35, v57, 0, vcc
	v_xor_b32_e32 v0, v35, v0
	v_and_b32_e32 v35, s54, v0
	s_waitcnt lgkmcnt(0)
	v_cmp_eq_u32_e32 vcc, v35, v28
	s_and_saveexec_b64 s[52:53], vcc
	s_cbranch_execz .LBB2_44
; %bb.43:                               ;   in Loop: Header=BB2_42 Depth=2
	v_bfe_u32 v0, v0, s56, 10
	v_lshlrev_b32_e32 v0, 2, v0
	ds_add_u32 v0, v56 offset:4224
.LBB2_44:                               ;   in Loop: Header=BB2_42 Depth=2
	s_or_b64 exec, exec, s[52:53]
	v_cmp_gt_i32_e32 vcc, 0, v1
	v_cndmask_b32_e64 v0, v57, 0, vcc
	v_xor_b32_e32 v0, v0, v1
	v_and_b32_e32 v1, s54, v0
	v_cmp_eq_u32_e32 vcc, v1, v28
	s_and_saveexec_b64 s[52:53], vcc
	s_cbranch_execz .LBB2_46
; %bb.45:                               ;   in Loop: Header=BB2_42 Depth=2
	v_bfe_u32 v0, v0, s56, 10
	v_lshlrev_b32_e32 v0, 2, v0
	ds_add_u32 v0, v56 offset:4224
.LBB2_46:                               ;   in Loop: Header=BB2_42 Depth=2
	s_or_b64 exec, exec, s[52:53]
	v_cmp_gt_i32_e32 vcc, 0, v2
	v_cndmask_b32_e64 v0, v57, 0, vcc
	v_xor_b32_e32 v0, v0, v2
	v_and_b32_e32 v1, s54, v0
	;; [unrolled: 13-line block ×3, first 2 shown]
	v_cmp_eq_u32_e32 vcc, v1, v28
	s_and_saveexec_b64 s[52:53], vcc
	s_cbranch_execz .LBB2_50
; %bb.49:                               ;   in Loop: Header=BB2_42 Depth=2
	v_bfe_u32 v0, v0, s56, 10
	v_lshlrev_b32_e32 v0, 2, v0
	ds_add_u32 v0, v56 offset:4224
.LBB2_50:                               ;   in Loop: Header=BB2_42 Depth=2
	s_or_b64 exec, exec, s[52:53]
	v_mov_b32_e32 v1, s76
	v_add_co_u32_e32 v0, vcc, s75, v10
	v_addc_co_u32_e32 v1, vcc, v1, v11, vcc
	v_lshlrev_b64 v[2:3], 4, v[8:9]
	v_mov_b32_e32 v8, s68
	v_add_co_u32_e32 v2, vcc, s62, v2
	v_addc_co_u32_e32 v3, vcc, v8, v3, vcc
	global_load_dwordx4 v[8:11], v[0:1], off
	s_nop 0
	global_load_dwordx4 v[0:3], v[2:3], off
	s_waitcnt vmcnt(2)
	v_cmp_gt_i32_e32 vcc, 0, v4
	v_cndmask_b32_e64 v35, v57, 0, vcc
	v_xor_b32_e32 v4, v35, v4
	v_and_b32_e32 v35, s54, v4
	v_cmp_eq_u32_e32 vcc, v35, v28
	s_and_saveexec_b64 s[52:53], vcc
	s_cbranch_execz .LBB2_52
; %bb.51:                               ;   in Loop: Header=BB2_42 Depth=2
	v_bfe_u32 v4, v4, s56, 10
	v_lshlrev_b32_e32 v4, 2, v4
	ds_add_u32 v4, v56 offset:4224
.LBB2_52:                               ;   in Loop: Header=BB2_42 Depth=2
	s_or_b64 exec, exec, s[52:53]
	v_cmp_gt_i32_e32 vcc, 0, v5
	v_cndmask_b32_e64 v4, v57, 0, vcc
	v_xor_b32_e32 v4, v4, v5
	v_and_b32_e32 v5, s54, v4
	v_cmp_eq_u32_e32 vcc, v5, v28
	s_and_saveexec_b64 s[52:53], vcc
	s_cbranch_execz .LBB2_54
; %bb.53:                               ;   in Loop: Header=BB2_42 Depth=2
	v_bfe_u32 v4, v4, s56, 10
	v_lshlrev_b32_e32 v4, 2, v4
	ds_add_u32 v4, v56 offset:4224
.LBB2_54:                               ;   in Loop: Header=BB2_42 Depth=2
	s_or_b64 exec, exec, s[52:53]
	v_cmp_gt_i32_e32 vcc, 0, v6
	v_cndmask_b32_e64 v4, v57, 0, vcc
	v_xor_b32_e32 v4, v4, v6
	v_and_b32_e32 v5, s54, v4
	v_cmp_eq_u32_e32 vcc, v5, v28
	s_and_saveexec_b64 s[52:53], vcc
	s_cbranch_execz .LBB2_56
; %bb.55:                               ;   in Loop: Header=BB2_42 Depth=2
	v_bfe_u32 v4, v4, s56, 10
	v_lshlrev_b32_e32 v4, 2, v4
	ds_add_u32 v4, v56 offset:4224
.LBB2_56:                               ;   in Loop: Header=BB2_42 Depth=2
	s_or_b64 exec, exec, s[52:53]
	v_cmp_gt_i32_e32 vcc, 0, v7
	v_cndmask_b32_e64 v4, v57, 0, vcc
	v_xor_b32_e32 v4, v4, v7
	v_and_b32_e32 v5, s54, v4
	v_cmp_eq_u32_e32 vcc, v5, v28
	s_and_saveexec_b64 s[52:53], vcc
	s_cbranch_execz .LBB2_58
; %bb.57:                               ;   in Loop: Header=BB2_42 Depth=2
	v_bfe_u32 v4, v4, s56, 10
	v_lshlrev_b32_e32 v4, 2, v4
	ds_add_u32 v4, v56 offset:4224
.LBB2_58:                               ;   in Loop: Header=BB2_42 Depth=2
	s_or_b64 exec, exec, s[52:53]
	s_waitcnt vmcnt(1)
	v_cmp_gt_i32_e32 vcc, 0, v8
	v_cndmask_b32_e64 v4, v57, 0, vcc
	v_xor_b32_e32 v4, v4, v8
	v_and_b32_e32 v5, s54, v4
	v_cmp_eq_u32_e32 vcc, v5, v28
	s_and_saveexec_b64 s[52:53], vcc
	s_cbranch_execz .LBB2_60
; %bb.59:                               ;   in Loop: Header=BB2_42 Depth=2
	v_bfe_u32 v4, v4, s56, 10
	v_lshlrev_b32_e32 v4, 2, v4
	ds_add_u32 v4, v56 offset:4224
.LBB2_60:                               ;   in Loop: Header=BB2_42 Depth=2
	s_or_b64 exec, exec, s[52:53]
	v_cmp_gt_i32_e32 vcc, 0, v9
	v_cndmask_b32_e64 v4, v57, 0, vcc
	v_xor_b32_e32 v4, v4, v9
	v_and_b32_e32 v5, s54, v4
	v_cmp_eq_u32_e32 vcc, v5, v28
	s_and_saveexec_b64 s[52:53], vcc
	s_cbranch_execz .LBB2_62
; %bb.61:                               ;   in Loop: Header=BB2_42 Depth=2
	v_bfe_u32 v4, v4, s56, 10
	v_lshlrev_b32_e32 v4, 2, v4
	ds_add_u32 v4, v56 offset:4224
.LBB2_62:                               ;   in Loop: Header=BB2_42 Depth=2
	s_or_b64 exec, exec, s[52:53]
	;; [unrolled: 13-line block ×4, first 2 shown]
	s_waitcnt vmcnt(0)
	v_cmp_gt_i32_e32 vcc, 0, v0
	v_cndmask_b32_e64 v4, v57, 0, vcc
	v_xor_b32_e32 v0, v4, v0
	v_and_b32_e32 v4, s54, v0
	v_cmp_eq_u32_e32 vcc, v4, v28
	s_and_saveexec_b64 s[52:53], vcc
	s_cbranch_execz .LBB2_68
; %bb.67:                               ;   in Loop: Header=BB2_42 Depth=2
	v_bfe_u32 v0, v0, s56, 10
	v_lshlrev_b32_e32 v0, 2, v0
	ds_add_u32 v0, v56 offset:4224
.LBB2_68:                               ;   in Loop: Header=BB2_42 Depth=2
	s_or_b64 exec, exec, s[52:53]
	v_cmp_gt_i32_e32 vcc, 0, v1
	v_cndmask_b32_e64 v0, v57, 0, vcc
	v_xor_b32_e32 v0, v0, v1
	v_and_b32_e32 v1, s54, v0
	v_cmp_eq_u32_e32 vcc, v1, v28
	s_and_saveexec_b64 s[52:53], vcc
	s_cbranch_execz .LBB2_70
; %bb.69:                               ;   in Loop: Header=BB2_42 Depth=2
	v_bfe_u32 v0, v0, s56, 10
	v_lshlrev_b32_e32 v0, 2, v0
	ds_add_u32 v0, v56 offset:4224
.LBB2_70:                               ;   in Loop: Header=BB2_42 Depth=2
	s_or_b64 exec, exec, s[52:53]
	;; [unrolled: 13-line block ×3, first 2 shown]
	v_cmp_gt_i32_e32 vcc, 0, v3
	v_cndmask_b32_e64 v0, v57, 0, vcc
	v_xor_b32_e32 v0, v0, v3
	v_and_b32_e32 v1, s54, v0
	v_cmp_eq_u32_e32 vcc, v1, v28
	s_and_saveexec_b64 s[52:53], vcc
	s_cbranch_execz .LBB2_41
; %bb.73:                               ;   in Loop: Header=BB2_42 Depth=2
	v_bfe_u32 v0, v0, s56, 10
	v_lshlrev_b32_e32 v0, 2, v0
	ds_add_u32 v0, v56 offset:4224
	s_branch .LBB2_41
.LBB2_74:                               ;   in Loop: Header=BB2_22 Depth=1
	s_mov_b64 s[50:51], -1
	s_mov_b64 s[6:7], 0
                                        ; implicit-def: $sgpr90
                                        ; implicit-def: $vgpr36_vgpr37
                                        ; implicit-def: $sgpr48_sgpr49
	s_branch .LBB2_21
.LBB2_75:                               ;   in Loop: Header=BB2_22 Depth=1
	s_mov_b64 s[50:51], 0
                                        ; implicit-def: $vgpr0
	s_cbranch_execnz .LBB2_96
	s_branch .LBB2_108
.LBB2_76:                               ;   in Loop: Header=BB2_22 Depth=1
	s_or_b64 exec, exec, s[50:51]
.LBB2_77:                               ;   in Loop: Header=BB2_22 Depth=1
	s_or_b64 exec, exec, s[6:7]
	v_cmp_gt_i32_e32 vcc, s30, v40
	s_and_saveexec_b64 s[6:7], vcc
	s_cbranch_execz .LBB2_88
; %bb.78:                               ;   in Loop: Header=BB2_22 Depth=1
	s_lshl_b32 s54, -1, s40
	s_mov_b64 s[50:51], 0
	s_branch .LBB2_80
.LBB2_79:                               ;   in Loop: Header=BB2_80 Depth=2
	s_or_b64 exec, exec, s[52:53]
	v_add_u32_e32 v40, s28, v40
	v_cmp_le_i32_e32 vcc, s30, v40
	s_or_b64 s[50:51], vcc, s[50:51]
	s_andn2_b64 exec, exec, s[50:51]
	s_cbranch_execz .LBB2_88
.LBB2_80:                               ;   Parent Loop BB2_22 Depth=1
                                        ; =>  This Inner Loop Header: Depth=2
	v_ashrrev_i32_e32 v41, 31, v40
	v_lshlrev_b64 v[0:1], 4, v[40:41]
	v_mov_b32_e32 v2, s68
	v_add_co_u32_e32 v0, vcc, s62, v0
	v_addc_co_u32_e32 v1, vcc, v2, v1, vcc
	global_load_dwordx4 v[0:3], v[0:1], off
	s_waitcnt vmcnt(0)
	v_cmp_gt_i32_e32 vcc, 0, v0
	v_cndmask_b32_e64 v4, v57, 0, vcc
	v_xor_b32_e32 v0, v4, v0
	v_and_b32_e32 v4, s54, v0
	s_waitcnt lgkmcnt(0)
	v_cmp_eq_u32_e32 vcc, v4, v28
	s_and_saveexec_b64 s[52:53], vcc
	s_cbranch_execz .LBB2_82
; %bb.81:                               ;   in Loop: Header=BB2_80 Depth=2
	v_bfe_u32 v0, v0, s56, 10
	v_lshlrev_b32_e32 v0, 2, v0
	ds_add_u32 v0, v56 offset:4224
.LBB2_82:                               ;   in Loop: Header=BB2_80 Depth=2
	s_or_b64 exec, exec, s[52:53]
	v_cmp_gt_i32_e32 vcc, 0, v1
	v_cndmask_b32_e64 v0, v57, 0, vcc
	v_xor_b32_e32 v0, v0, v1
	v_and_b32_e32 v1, s54, v0
	v_cmp_eq_u32_e32 vcc, v1, v28
	s_and_saveexec_b64 s[52:53], vcc
	s_cbranch_execz .LBB2_84
; %bb.83:                               ;   in Loop: Header=BB2_80 Depth=2
	v_bfe_u32 v0, v0, s56, 10
	v_lshlrev_b32_e32 v0, 2, v0
	ds_add_u32 v0, v56 offset:4224
.LBB2_84:                               ;   in Loop: Header=BB2_80 Depth=2
	s_or_b64 exec, exec, s[52:53]
	v_cmp_gt_i32_e32 vcc, 0, v2
	v_cndmask_b32_e64 v0, v57, 0, vcc
	v_xor_b32_e32 v0, v0, v2
	v_and_b32_e32 v1, s54, v0
	;; [unrolled: 13-line block ×3, first 2 shown]
	v_cmp_eq_u32_e32 vcc, v1, v28
	s_and_saveexec_b64 s[52:53], vcc
	s_cbranch_execz .LBB2_79
; %bb.87:                               ;   in Loop: Header=BB2_80 Depth=2
	v_bfe_u32 v0, v0, s56, 10
	v_lshlrev_b32_e32 v0, 2, v0
	ds_add_u32 v0, v56 offset:4224
	s_branch .LBB2_79
.LBB2_88:                               ;   in Loop: Header=BB2_22 Depth=1
	s_or_b64 exec, exec, s[6:7]
	s_and_saveexec_b64 s[6:7], s[2:3]
	s_cbranch_execz .LBB2_91
; %bb.89:                               ;   in Loop: Header=BB2_22 Depth=1
	global_load_dword v0, v[18:19], off
	s_lshl_b32 s50, -1, s40
	s_waitcnt vmcnt(0)
	v_cmp_gt_i32_e32 vcc, 0, v0
	v_cndmask_b32_e64 v1, v57, 0, vcc
	v_xor_b32_e32 v0, v1, v0
	v_and_b32_e32 v1, s50, v0
	s_waitcnt lgkmcnt(0)
	v_cmp_eq_u32_e32 vcc, v1, v28
	s_and_b64 exec, exec, vcc
	s_cbranch_execz .LBB2_91
; %bb.90:                               ;   in Loop: Header=BB2_22 Depth=1
	v_bfe_u32 v0, v0, s56, 10
	v_lshlrev_b32_e32 v0, 2, v0
	ds_add_u32 v0, v56 offset:4224
.LBB2_91:                               ;   in Loop: Header=BB2_22 Depth=1
	s_or_b64 exec, exec, s[6:7]
	s_mov_b64 s[6:7], 0
	s_mov_b64 s[50:51], 0
                                        ; implicit-def: $vgpr0
	s_and_saveexec_b64 s[52:53], s[0:1]
	s_cbranch_execz .LBB2_95
; %bb.92:                               ;   in Loop: Header=BB2_22 Depth=1
	global_load_dword v0, v[14:15], off
	s_lshl_b32 s40, -1, s40
	s_waitcnt vmcnt(0)
	v_cmp_gt_i32_e32 vcc, 0, v0
	v_cndmask_b32_e64 v1, v57, 0, vcc
	v_xor_b32_e32 v1, v1, v0
	v_and_b32_e32 v0, s40, v1
	s_waitcnt lgkmcnt(0)
	v_cmp_eq_u32_e32 vcc, v0, v28
                                        ; implicit-def: $vgpr0
	s_and_saveexec_b64 s[54:55], vcc
	s_xor_b64 s[54:55], exec, s[54:55]
; %bb.93:                               ;   in Loop: Header=BB2_22 Depth=1
	s_mov_b64 s[50:51], exec
	v_bfe_u32 v0, v1, s56, 10
; %bb.94:                               ;   in Loop: Header=BB2_22 Depth=1
	s_or_b64 exec, exec, s[54:55]
	s_and_b64 s[50:51], s[50:51], exec
.LBB2_95:                               ;   in Loop: Header=BB2_22 Depth=1
	s_or_b64 exec, exec, s[52:53]
	s_and_b64 vcc, exec, s[6:7]
	s_cbranch_vccz .LBB2_108
.LBB2_96:                               ;   in Loop: Header=BB2_22 Depth=1
	v_mov_b32_e32 v8, v24
	s_and_saveexec_b64 s[52:53], s[4:5]
	s_cbranch_execz .LBB2_100
; %bb.97:                               ;   in Loop: Header=BB2_22 Depth=1
	s_mov_b64 s[54:55], 0
	v_pk_mov_b32 v[10:11], v[22:23], v[22:23] op_sel:[0,1]
	v_pk_mov_b32 v[8:9], v[20:21], v[20:21] op_sel:[0,1]
.LBB2_98:                               ;   Parent Loop BB2_22 Depth=1
                                        ; =>  This Inner Loop Header: Depth=2
	s_waitcnt vmcnt(0)
	v_lshlrev_b64 v[4:5], 4, v[8:9]
	v_mov_b32_e32 v9, s68
	v_add_co_u32_e32 v0, vcc, s62, v4
	v_addc_co_u32_e32 v1, vcc, v9, v5, vcc
	global_load_dwordx4 v[0:3], v[0:1], off
	s_waitcnt lgkmcnt(0)
	v_mov_b32_e32 v28, s74
	v_lshlrev_b64 v[6:7], 4, v[10:11]
	v_add_co_u32_e32 v10, vcc, s73, v4
	v_addc_co_u32_e32 v11, vcc, v28, v5, vcc
	global_load_dwordx4 v[40:43], v[10:11], off
	v_mov_b32_e32 v35, s76
	v_add_co_u32_e32 v4, vcc, s75, v4
	v_addc_co_u32_e32 v5, vcc, v35, v5, vcc
	v_add_co_u32_e32 v44, vcc, s62, v6
	v_addc_co_u32_e32 v45, vcc, v9, v7, vcc
	v_add_u32_e32 v8, s63, v8
	v_mov_b32_e32 v11, s69
	s_waitcnt vmcnt(1)
	v_cmp_gt_i32_e32 vcc, 0, v0
	v_cndmask_b32_e64 v6, v57, 0, vcc
	v_cmp_gt_i32_e32 vcc, 0, v1
	v_cndmask_b32_e64 v7, v57, 0, vcc
	;; [unrolled: 2-line block ×4, first 2 shown]
	v_xor_b32_e32 v0, v6, v0
	v_xor_b32_e32 v1, v7, v1
	;; [unrolled: 1-line block ×4, first 2 shown]
	v_bfe_u32 v0, v0, s56, 10
	v_bfe_u32 v1, v1, s56, 10
	;; [unrolled: 1-line block ×4, first 2 shown]
	v_lshlrev_b32_e32 v0, 2, v0
	v_lshlrev_b32_e32 v1, 2, v1
	;; [unrolled: 1-line block ×4, first 2 shown]
	ds_add_u32 v0, v56 offset:4224
	ds_add_u32 v1, v56 offset:4224
	;; [unrolled: 1-line block ×4, first 2 shown]
	global_load_dwordx4 v[4:7], v[4:5], off
	s_nop 0
	global_load_dwordx4 v[0:3], v[44:45], off
	s_waitcnt vmcnt(2)
	v_cmp_gt_i32_e64 s[6:7], 0, v40
	v_cndmask_b32_e64 v28, v57, 0, s[6:7]
	v_cmp_gt_i32_e64 s[6:7], 0, v41
	v_cndmask_b32_e64 v35, v57, 0, s[6:7]
	;; [unrolled: 2-line block ×4, first 2 shown]
	v_xor_b32_e32 v28, v28, v40
	v_xor_b32_e32 v35, v35, v41
	;; [unrolled: 1-line block ×4, first 2 shown]
	v_bfe_u32 v28, v28, s56, 10
	v_bfe_u32 v35, v35, s56, 10
	;; [unrolled: 1-line block ×4, first 2 shown]
	v_lshlrev_b32_e32 v28, 2, v28
	v_lshlrev_b32_e32 v35, 2, v35
	v_lshlrev_b32_e32 v39, 2, v39
	v_lshlrev_b32_e32 v40, 2, v40
	ds_add_u32 v28, v56 offset:4224
	ds_add_u32 v35, v56 offset:4224
	;; [unrolled: 1-line block ×4, first 2 shown]
	v_ashrrev_i32_e32 v9, 31, v8
	v_add_co_u32_e32 v10, vcc, s70, v8
	v_addc_co_u32_e32 v11, vcc, v11, v9, vcc
	v_cmp_le_u64_e32 vcc, s[30:31], v[10:11]
	s_or_b64 s[54:55], vcc, s[54:55]
	s_waitcnt vmcnt(1)
	v_cmp_gt_i32_e64 s[6:7], 0, v4
	v_cndmask_b32_e64 v28, v57, 0, s[6:7]
	v_cmp_gt_i32_e64 s[6:7], 0, v5
	v_cndmask_b32_e64 v35, v57, 0, s[6:7]
	;; [unrolled: 2-line block ×4, first 2 shown]
	s_waitcnt vmcnt(0)
	v_cmp_gt_i32_e64 s[6:7], 0, v0
	v_cndmask_b32_e64 v41, v57, 0, s[6:7]
	v_cmp_gt_i32_e64 s[6:7], 0, v1
	v_cndmask_b32_e64 v42, v57, 0, s[6:7]
	;; [unrolled: 2-line block ×4, first 2 shown]
	v_xor_b32_e32 v4, v28, v4
	v_xor_b32_e32 v5, v35, v5
	;; [unrolled: 1-line block ×8, first 2 shown]
	v_bfe_u32 v4, v4, s56, 10
	v_bfe_u32 v5, v5, s56, 10
	;; [unrolled: 1-line block ×8, first 2 shown]
	v_lshlrev_b32_e32 v4, 2, v4
	v_lshlrev_b32_e32 v5, 2, v5
	;; [unrolled: 1-line block ×8, first 2 shown]
	ds_add_u32 v4, v56 offset:4224
	ds_add_u32 v5, v56 offset:4224
	;; [unrolled: 1-line block ×8, first 2 shown]
	s_andn2_b64 exec, exec, s[54:55]
	s_cbranch_execnz .LBB2_98
; %bb.99:                               ;   in Loop: Header=BB2_22 Depth=1
	s_or_b64 exec, exec, s[54:55]
.LBB2_100:                              ;   in Loop: Header=BB2_22 Depth=1
	s_or_b64 exec, exec, s[52:53]
	v_cmp_gt_i32_e32 vcc, s30, v8
	s_and_saveexec_b64 s[6:7], vcc
	s_cbranch_execz .LBB2_103
; %bb.101:                              ;   in Loop: Header=BB2_22 Depth=1
	s_mov_b64 s[52:53], 0
.LBB2_102:                              ;   Parent Loop BB2_22 Depth=1
                                        ; =>  This Inner Loop Header: Depth=2
	v_ashrrev_i32_e32 v9, 31, v8
	v_lshlrev_b64 v[0:1], 4, v[8:9]
	v_mov_b32_e32 v2, s68
	v_add_co_u32_e32 v0, vcc, s62, v0
	v_addc_co_u32_e32 v1, vcc, v2, v1, vcc
	global_load_dwordx4 v[0:3], v[0:1], off
	v_add_u32_e32 v8, s28, v8
	s_waitcnt vmcnt(0)
	v_cmp_gt_i32_e32 vcc, 0, v0
	v_cndmask_b32_e64 v4, v57, 0, vcc
	v_cmp_gt_i32_e32 vcc, 0, v1
	v_cndmask_b32_e64 v5, v57, 0, vcc
	;; [unrolled: 2-line block ×3, first 2 shown]
	v_cmp_gt_i32_e32 vcc, 0, v3
	v_xor_b32_e32 v0, v4, v0
	v_cndmask_b32_e64 v7, v57, 0, vcc
	v_xor_b32_e32 v1, v5, v1
	v_xor_b32_e32 v2, v6, v2
	v_bfe_u32 v0, v0, s56, 10
	v_xor_b32_e32 v3, v7, v3
	v_bfe_u32 v1, v1, s56, 10
	v_bfe_u32 v2, v2, s56, 10
	v_lshlrev_b32_e32 v0, 2, v0
	v_bfe_u32 v3, v3, s56, 10
	v_lshlrev_b32_e32 v1, 2, v1
	v_lshlrev_b32_e32 v2, 2, v2
	ds_add_u32 v0, v56 offset:4224
	ds_add_u32 v1, v56 offset:4224
	;; [unrolled: 1-line block ×3, first 2 shown]
	v_lshlrev_b32_e32 v0, 2, v3
	ds_add_u32 v0, v56 offset:4224
	v_cmp_le_i32_e32 vcc, s30, v8
	s_or_b64 s[52:53], vcc, s[52:53]
	s_andn2_b64 exec, exec, s[52:53]
	s_cbranch_execnz .LBB2_102
.LBB2_103:                              ;   in Loop: Header=BB2_22 Depth=1
	s_or_b64 exec, exec, s[6:7]
	s_and_saveexec_b64 s[6:7], s[2:3]
	s_cbranch_execz .LBB2_105
; %bb.104:                              ;   in Loop: Header=BB2_22 Depth=1
	global_load_dword v0, v[18:19], off
	s_waitcnt vmcnt(0)
	v_cmp_gt_i32_e32 vcc, 0, v0
	v_cndmask_b32_e64 v1, v57, 0, vcc
	v_xor_b32_e32 v0, v1, v0
	v_bfe_u32 v0, v0, s56, 10
	v_lshlrev_b32_e32 v0, 2, v0
	ds_add_u32 v0, v56 offset:4224
.LBB2_105:                              ;   in Loop: Header=BB2_22 Depth=1
	s_or_b64 exec, exec, s[6:7]
                                        ; implicit-def: $vgpr0
	s_and_saveexec_b64 s[6:7], s[0:1]
	s_cbranch_execz .LBB2_107
; %bb.106:                              ;   in Loop: Header=BB2_22 Depth=1
	global_load_dword v0, v[14:15], off
	s_or_b64 s[50:51], s[50:51], exec
	s_waitcnt vmcnt(0)
	v_cmp_gt_i32_e32 vcc, 0, v0
	v_cndmask_b32_e64 v1, v57, 0, vcc
	v_xor_b32_e32 v0, v1, v0
	v_bfe_u32 v0, v0, s56, 10
.LBB2_107:                              ;   in Loop: Header=BB2_22 Depth=1
	s_or_b64 exec, exec, s[6:7]
.LBB2_108:                              ;   in Loop: Header=BB2_22 Depth=1
	s_and_saveexec_b64 s[6:7], s[50:51]
	s_cbranch_execz .LBB2_110
; %bb.109:                              ;   in Loop: Header=BB2_22 Depth=1
	v_lshlrev_b32_e32 v0, 2, v0
	ds_add_u32 v0, v56 offset:4224
.LBB2_110:                              ;   in Loop: Header=BB2_22 Depth=1
	s_or_b64 exec, exec, s[6:7]
	s_mov_b64 s[6:7], 0
	v_mov_b32_e32 v2, v32
	v_pk_mov_b32 v[0:1], v[36:37], v[36:37] op_sel:[0,1]
	s_waitcnt vmcnt(0)
	v_mov_b32_e32 v3, v26
	s_waitcnt lgkmcnt(0)
	s_barrier
	s_branch .LBB2_112
.LBB2_111:                              ;   in Loop: Header=BB2_112 Depth=2
	s_or_b64 exec, exec, s[50:51]
	v_mov_b32_e32 v4, s83
	v_add_co_u32_e32 v0, vcc, s82, v0
	v_add_u32_e32 v3, s72, v3
	v_addc_co_u32_e32 v1, vcc, v1, v4, vcc
	v_cmp_lt_u32_e32 vcc, s89, v3
	s_or_b64 s[6:7], vcc, s[6:7]
	v_add_u32_e32 v2, s82, v2
	s_andn2_b64 exec, exec, s[6:7]
	s_cbranch_execz .LBB2_114
.LBB2_112:                              ;   Parent Loop BB2_22 Depth=1
                                        ; =>  This Inner Loop Header: Depth=2
	ds_read_b32 v4, v2
	s_waitcnt lgkmcnt(0)
	v_cmp_ne_u32_e32 vcc, 0, v4
	s_and_saveexec_b64 s[50:51], vcc
	s_cbranch_execz .LBB2_111
; %bb.113:                              ;   in Loop: Header=BB2_112 Depth=2
	global_atomic_add v[0:1], v4, off
	s_branch .LBB2_111
.LBB2_114:                              ;   in Loop: Header=BB2_22 Depth=1
	s_or_b64 exec, exec, s[6:7]
	s_mov_b64 s[6:7], 0
	s_barrier
	s_and_saveexec_b64 s[50:51], s[18:19]
	s_cbranch_execz .LBB2_116
; %bb.115:                              ;   in Loop: Header=BB2_22 Depth=1
	v_mov_b32_e32 v0, s77
	global_atomic_inc v0, v29, v0, s[24:25] offset:256 glc
	s_waitcnt vmcnt(0)
	v_cmp_eq_u32_e32 vcc, s77, v0
	s_and_b64 s[6:7], vcc, exec
.LBB2_116:                              ;   in Loop: Header=BB2_22 Depth=1
	s_or_b64 exec, exec, s[50:51]
	global_load_dword v0, v29, s[38:39] offset:14
	v_cndmask_b32_e64 v1, 0, 1, s[6:7]
	s_waitcnt vmcnt(0)
	v_readfirstlane_b32 s6, v0
	v_or_b32_dpp v1, v1, v1 row_shl:1 row_mask:0xf bank_mask:0xf bound_ctrl:1
	s_lshr_b32 s50, s6, 16
	s_and_b32 s6, s6, 0xffff
	v_or_b32_dpp v1, v1, v1 row_shl:2 row_mask:0xf bank_mask:0xf bound_ctrl:1
	s_mul_i32 s51, s78, s6
	s_ashr_i32 s51, s51, 8
	v_or_b32_dpp v1, v1, v1 row_shl:4 row_mask:0xf bank_mask:0xf bound_ctrl:1
	s_mul_i32 s50, s51, s50
	s_add_i32 s50, s50, 63
	v_or_b32_dpp v1, v1, v1 row_shl:8 row_mask:0xf bank_mask:0xf bound_ctrl:1
	s_bitcmp1_b32 exec_hi, 0
	s_nop 0
	v_mov_b32_dpp v2, v1 wave_shl:1 row_mask:0xf bank_mask:0xf bound_ctrl:1
	s_nop 1
	v_or_b32_dpp v1, v2, v1 row_mirror row_mask:0xf bank_mask:0xf bound_ctrl:1
	v_readlane_b32 s7, v1, 32
	v_readlane_b32 s40, v1, 0
	s_cselect_b32 s7, s7, 0
	s_or_b32 s40, s7, s40
	s_andn2_b32 s50, s50, 63
	s_cmp_eq_u32 s50, 64
	v_mov_b32_e32 v0, s40
	s_cbranch_scc1 .LBB2_123
; %bb.117:                              ;   in Loop: Header=BB2_22 Depth=1
	v_mad_u32_u24 v0, v25, s6, v27
	v_mad_u64_u32 v[0:1], s[6:7], v0, s72, v[26:27]
	v_lshrrev_b32_e32 v1, 6, v0
	v_or_b32_e32 v1, v58, v1
	v_cmp_eq_u32_e32 vcc, 0, v1
	s_and_saveexec_b64 s[6:7], vcc
	s_cbranch_execz .LBB2_119
; %bb.118:                              ;   in Loop: Header=BB2_22 Depth=1
	v_mov_b32_e32 v1, s40
	ds_write_b32 v29, v1 offset:8320
.LBB2_119:                              ;   in Loop: Header=BB2_22 Depth=1
	s_or_b64 exec, exec, s[6:7]
	v_cmp_eq_u32_e32 vcc, 0, v58
	v_cmp_lt_u32_e64 s[6:7], 63, v0
	s_and_b64 s[50:51], s[6:7], vcc
	s_waitcnt lgkmcnt(0)
	s_barrier
	s_and_saveexec_b64 s[6:7], s[50:51]
	s_cbranch_execz .LBB2_122
; %bb.120:                              ;   in Loop: Header=BB2_22 Depth=1
	v_mbcnt_lo_u32_b32 v0, exec_lo, 0
	v_mbcnt_hi_u32_b32 v0, exec_hi, v0
	v_cmp_eq_u32_e32 vcc, 0, v0
	s_and_b64 exec, exec, vcc
	s_cbranch_execz .LBB2_122
; %bb.121:                              ;   in Loop: Header=BB2_22 Depth=1
	v_mov_b32_e32 v0, s40
	ds_or_b32 v29, v0 offset:8320
.LBB2_122:                              ;   in Loop: Header=BB2_22 Depth=1
	s_or_b64 exec, exec, s[6:7]
	s_waitcnt lgkmcnt(0)
	s_barrier
	ds_read_b32 v0, v29 offset:8320
	s_waitcnt lgkmcnt(0)
	s_barrier
.LBB2_123:                              ;   in Loop: Header=BB2_22 Depth=1
	v_cmp_eq_u32_e32 vcc, 0, v0
	s_cbranch_vccnz .LBB2_127
; %bb.124:                              ;   in Loop: Header=BB2_22 Depth=1
	s_and_saveexec_b64 s[6:7], s[18:19]
	s_cbranch_execz .LBB2_126
; %bb.125:                              ;   in Loop: Header=BB2_22 Depth=1
	s_add_i32 s40, s90, 1
	v_pk_mov_b32 v[0:1], s[24:25], s[24:25] op_sel:[0,1]
	v_mov_b32_e32 v2, s40
	buffer_wbl2
	flat_store_dword v[0:1], v2 offset:640
.LBB2_126:                              ;   in Loop: Header=BB2_22 Depth=1
	s_or_b64 exec, exec, s[6:7]
	s_cbranch_execz .LBB2_128
	s_branch .LBB2_133
.LBB2_127:                              ;   in Loop: Header=BB2_22 Depth=1
.LBB2_128:                              ;   in Loop: Header=BB2_22 Depth=1
	s_and_saveexec_b64 s[6:7], s[18:19]
	s_cbranch_execz .LBB2_132
; %bb.129:                              ;   in Loop: Header=BB2_22 Depth=1
	v_pk_mov_b32 v[0:1], s[24:25], s[24:25] op_sel:[0,1]
	flat_load_dword v0, v[0:1] offset:640 glc
	s_waitcnt vmcnt(0) lgkmcnt(0)
	buffer_invl2
	buffer_wbinvl1_vol
	v_cmp_ge_u32_e32 vcc, s90, v0
	s_and_b64 exec, exec, vcc
	s_cbranch_execz .LBB2_132
; %bb.130:                              ;   in Loop: Header=BB2_22 Depth=1
	s_mov_b64 s[50:51], 0
.LBB2_131:                              ;   Parent Loop BB2_22 Depth=1
                                        ; =>  This Inner Loop Header: Depth=2
	v_pk_mov_b32 v[0:1], s[24:25], s[24:25] op_sel:[0,1]
	s_sleep 1
	flat_load_dword v0, v[0:1] offset:640 glc
	s_waitcnt vmcnt(0) lgkmcnt(0)
	buffer_invl2
	buffer_wbinvl1_vol
	v_readfirstlane_b32 s40, v0
	s_cmp_gt_u32 s40, s90
	s_cselect_b64 s[52:53], -1, 0
	s_and_b64 s[52:53], exec, s[52:53]
	s_or_b64 s[50:51], s[52:53], s[50:51]
	s_andn2_b64 exec, exec, s[50:51]
	s_cbranch_execnz .LBB2_131
.LBB2_132:                              ;   in Loop: Header=BB2_22 Depth=1
	s_or_b64 exec, exec, s[6:7]
	s_waitcnt lgkmcnt(0)
	s_barrier
.LBB2_133:                              ;   in Loop: Header=BB2_22 Depth=1
	s_mov_b64 s[50:51], -1
	v_mov_b32_e32 v2, v26
	v_pk_mov_b32 v[0:1], v[30:31], v[30:31] op_sel:[0,1]
	v_mov_b32_e32 v3, v30
	s_and_saveexec_b64 s[6:7], s[46:47]
	s_cbranch_execz .LBB2_144
; %bb.134:                              ;   in Loop: Header=BB2_22 Depth=1
	s_lshl_b32 s40, s90, 10
	s_lshl_b64 s[50:51], s[40:41], 2
	s_add_u32 s40, s42, s50
	s_addc_u32 s54, s43, s51
	v_mov_b32_e32 v2, 0
	s_and_saveexec_b64 s[50:51], s[12:13]
	s_cbranch_execz .LBB2_138
; %bb.135:                              ;   in Loop: Header=BB2_22 Depth=1
	s_mov_b32 s55, 0
	s_mov_b64 s[52:53], 0
	v_mov_b32_e32 v0, v53
	v_mov_b32_e32 v1, v32
	;; [unrolled: 1-line block ×3, first 2 shown]
.LBB2_136:                              ;   Parent Loop BB2_22 Depth=1
                                        ; =>  This Inner Loop Header: Depth=2
	v_lshlrev_b64 v[2:3], 2, v[28:29]
	v_mov_b32_e32 v35, s54
	v_add_u32_e32 v4, s79, v28
	v_mov_b32_e32 v5, v29
	v_add_co_u32_e32 v2, vcc, s40, v2
	v_addc_co_u32_e32 v3, vcc, v35, v3, vcc
	v_lshlrev_b64 v[4:5], 2, v[4:5]
	v_add_u32_e32 v6, s82, v28
	v_mov_b32_e32 v7, v29
	global_load_dwordx2 v[46:47], v[2:3], off
	v_add_co_u32_e32 v2, vcc, s40, v4
	v_lshlrev_b64 v[6:7], 2, v[6:7]
	v_addc_co_u32_e32 v3, vcc, v35, v5, vcc
	v_add_u32_e32 v8, s85, v28
	v_mov_b32_e32 v9, v29
	v_add_co_u32_e32 v4, vcc, s40, v6
	v_lshlrev_b64 v[8:9], 2, v[8:9]
	v_addc_co_u32_e32 v5, vcc, v35, v7, vcc
	v_add_u32_e32 v10, s81, v28
	v_mov_b32_e32 v11, v29
	;; [unrolled: 5-line block ×5, first 2 shown]
	v_add_co_u32_e32 v40, vcc, s40, v42
	v_lshlrev_b64 v[44:45], 2, v[44:45]
	v_addc_co_u32_e32 v41, vcc, v35, v43, vcc
	v_add_co_u32_e32 v42, vcc, s40, v44
	v_addc_co_u32_e32 v43, vcc, v35, v45, vcc
	global_load_dwordx2 v[44:45], v[2:3], off
	s_nop 0
	global_load_dwordx2 v[4:5], v[4:5], off
	s_nop 0
	;; [unrolled: 2-line block ×6, first 2 shown]
	global_load_dwordx2 v[42:43], v[42:43], off
	v_add_u32_e32 v3, s81, v1
	v_add_u32_e32 v35, s81, v3
	;; [unrolled: 1-line block ×3, first 2 shown]
	v_add_u32_e32 v0, -8, v0
	v_add_u32_e32 v60, s81, v39
	s_add_i32 s55, s55, 16
	v_cmp_eq_u32_e32 vcc, 0, v0
	v_add_u32_e32 v61, s81, v60
	v_add_u32_e32 v28, s84, v28
	v_mov_b32_e32 v2, s55
	s_or_b64 s[52:53], vcc, s[52:53]
	v_add_u32_e32 v62, s81, v61
	v_add_u32_e32 v63, s81, v62
	s_waitcnt vmcnt(0)
	ds_write2_b32 v1, v46, v47 offset1:1
	v_add_u32_e32 v1, s80, v1
	ds_write2_b32 v3, v44, v45 offset1:1
	ds_write2_b32 v35, v4, v5 offset1:1
	;; [unrolled: 1-line block ×7, first 2 shown]
	s_andn2_b64 exec, exec, s[52:53]
	s_cbranch_execnz .LBB2_136
; %bb.137:                              ;   in Loop: Header=BB2_22 Depth=1
	s_or_b64 exec, exec, s[52:53]
.LBB2_138:                              ;   in Loop: Header=BB2_22 Depth=1
	s_or_b64 exec, exec, s[50:51]
	s_and_saveexec_b64 s[50:51], s[14:15]
	s_cbranch_execz .LBB2_141
; %bb.139:                              ;   in Loop: Header=BB2_22 Depth=1
	v_add_u32_e32 v28, v26, v2
	v_lshl_add_u32 v0, v28, 2, v59
	s_mov_b64 s[52:53], 0
	v_mov_b32_e32 v1, v52
.LBB2_140:                              ;   Parent Loop BB2_22 Depth=1
                                        ; =>  This Inner Loop Header: Depth=2
	v_lshlrev_b64 v[2:3], 2, v[28:29]
	v_mov_b32_e32 v4, s54
	v_add_co_u32_e32 v2, vcc, s40, v2
	v_addc_co_u32_e32 v3, vcc, v4, v3, vcc
	global_load_dwordx2 v[2:3], v[2:3], off
	v_add_u32_e32 v1, -1, v1
	v_cmp_eq_u32_e32 vcc, 0, v1
	v_add_u32_e32 v28, s79, v28
	s_or_b64 s[52:53], vcc, s[52:53]
	s_waitcnt vmcnt(0)
	ds_write2_b32 v0, v2, v3 offset1:1
	v_add_u32_e32 v0, s81, v0
	s_andn2_b64 exec, exec, s[52:53]
	s_cbranch_execnz .LBB2_140
.LBB2_141:                              ;   in Loop: Header=BB2_22 Depth=1
	s_or_b64 exec, exec, s[50:51]
	s_mov_b64 s[50:51], 0
                                        ; implicit-def: $vgpr0_vgpr1
                                        ; implicit-def: $vgpr3
	s_and_saveexec_b64 s[52:53], s[16:17]
	s_xor_b64 s[52:53], exec, s[52:53]
; %bb.142:                              ;   in Loop: Header=BB2_22 Depth=1
	v_mov_b32_e32 v35, v29
	s_mov_b64 s[50:51], exec
	v_lshlrev_b64 v[0:1], 2, v[34:35]
	v_lshlrev_b32_e32 v3, 2, v34
; %bb.143:                              ;   in Loop: Header=BB2_22 Depth=1
	s_or_b64 exec, exec, s[52:53]
	s_orn2_b64 s[50:51], s[50:51], exec
	v_mov_b32_e32 v2, v34
.LBB2_144:                              ;   in Loop: Header=BB2_22 Depth=1
	s_or_b64 exec, exec, s[6:7]
	s_and_saveexec_b64 s[6:7], s[50:51]
	s_cbranch_execz .LBB2_147
; %bb.145:                              ;   in Loop: Header=BB2_22 Depth=1
	v_mov_b32_e32 v4, s49
	v_add_co_u32_e32 v0, vcc, s48, v0
	v_addc_co_u32_e32 v1, vcc, v4, v1, vcc
	v_add_u32_e32 v3, 0x1080, v3
	s_mov_b64 s[50:51], 0
.LBB2_146:                              ;   Parent Loop BB2_22 Depth=1
                                        ; =>  This Inner Loop Header: Depth=2
	global_load_dword v4, v[0:1], off
	v_mov_b32_e32 v5, s83
	v_add_co_u32_e32 v0, vcc, s82, v0
	v_add_u32_e32 v2, s72, v2
	v_addc_co_u32_e32 v1, vcc, v1, v5, vcc
	v_cmp_lt_u32_e32 vcc, s89, v2
	s_or_b64 s[50:51], vcc, s[50:51]
	s_waitcnt vmcnt(0)
	ds_write_b32 v3, v4
	v_add_u32_e32 v3, s82, v3
	s_andn2_b64 exec, exec, s[50:51]
	s_cbranch_execnz .LBB2_146
.LBB2_147:                              ;   in Loop: Header=BB2_22 Depth=1
	s_or_b64 exec, exec, s[6:7]
	s_waitcnt lgkmcnt(0)
	s_barrier
	flat_load_dword v0, v[32:33] glc
	s_waitcnt vmcnt(0) lgkmcnt(0)
	ds_write_b32 v30, v0
	s_waitcnt lgkmcnt(0)
	s_barrier
	ds_read_b32 v0, v30
	s_waitcnt lgkmcnt(0)
	s_barrier
	ds_write_b32 v50, v0
	s_waitcnt lgkmcnt(0)
	s_barrier
	s_and_saveexec_b64 s[6:7], s[8:9]
	s_cbranch_execz .LBB2_149
; %bb.148:                              ;   in Loop: Header=BB2_22 Depth=1
	ds_read2_b32 v[2:3], v51 offset1:1
	ds_read2_b32 v[4:5], v51 offset0:2 offset1:3
	ds_read2_b32 v[6:7], v51 offset0:4 offset1:5
	;; [unrolled: 1-line block ×7, first 2 shown]
	s_waitcnt lgkmcnt(7)
	v_add_u32_e32 v1, v3, v2
	s_waitcnt lgkmcnt(6)
	v_add3_u32 v1, v1, v4, v5
	s_waitcnt lgkmcnt(5)
	v_add3_u32 v1, v1, v6, v7
	;; [unrolled: 2-line block ×7, first 2 shown]
	v_and_b32_e32 v28, 15, v58
	v_cmp_ne_u32_e32 vcc, 0, v28
	v_mov_b32_dpp v35, v1 row_shr:1 row_mask:0xf bank_mask:0xf
	v_cndmask_b32_e32 v35, 0, v35, vcc
	v_add_u32_e32 v1, v35, v1
	v_cmp_lt_u32_e32 vcc, 1, v28
	s_nop 0
	v_mov_b32_dpp v35, v1 row_shr:2 row_mask:0xf bank_mask:0xf
	v_cndmask_b32_e32 v35, 0, v35, vcc
	v_add_u32_e32 v1, v1, v35
	v_cmp_lt_u32_e32 vcc, 3, v28
	s_nop 0
	;; [unrolled: 5-line block ×3, first 2 shown]
	v_mov_b32_dpp v35, v1 row_shr:8 row_mask:0xf bank_mask:0xf
	v_cndmask_b32_e32 v28, 0, v35, vcc
	v_add_u32_e32 v1, v1, v28
	v_bfe_i32 v35, v58, 4, 1
	v_cmp_lt_u32_e32 vcc, 31, v58
	v_mov_b32_dpp v28, v1 row_bcast:15 row_mask:0xf bank_mask:0xf
	v_and_b32_e32 v28, v35, v28
	v_add_u32_e32 v1, v1, v28
	v_and_b32_e32 v35, 64, v58
	s_nop 0
	v_mov_b32_dpp v28, v1 row_bcast:31 row_mask:0xf bank_mask:0xf
	v_cndmask_b32_e32 v28, 0, v28, vcc
	v_add_u32_e32 v1, v1, v28
	v_add_u32_e32 v28, -1, v58
	v_cmp_lt_i32_e32 vcc, v28, v35
	v_cndmask_b32_e32 v28, v28, v58, vcc
	v_lshlrev_b32_e32 v28, 2, v28
	ds_bpermute_b32 v1, v28, v1
	s_waitcnt lgkmcnt(0)
	v_add_u32_e32 v1, v1, v2
	v_cndmask_b32_e64 v0, v1, v0, s[18:19]
	v_add_u32_e32 v1, v0, v3
	ds_write2_b32 v51, v0, v1 offset1:1
	v_add_u32_e32 v0, v1, v4
	v_add_u32_e32 v1, v0, v5
	ds_write2_b32 v51, v0, v1 offset0:2 offset1:3
	v_add_u32_e32 v0, v1, v6
	v_add_u32_e32 v1, v0, v7
	ds_write2_b32 v51, v0, v1 offset0:4 offset1:5
	v_add_u32_e32 v0, v1, v8
	v_add_u32_e32 v1, v0, v9
	ds_write2_b32 v51, v0, v1 offset0:6 offset1:7
	v_add_u32_e32 v0, v1, v10
	v_add_u32_e32 v1, v0, v11
	ds_write2_b32 v51, v0, v1 offset0:8 offset1:9
	v_add_u32_e32 v0, v1, v40
	v_add_u32_e32 v1, v0, v41
	ds_write2_b32 v51, v0, v1 offset0:10 offset1:11
	v_add_u32_e32 v0, v1, v42
	v_add_u32_e32 v1, v0, v43
	ds_write2_b32 v51, v0, v1 offset0:12 offset1:13
	v_add_u32_e32 v0, v1, v44
	v_add_u32_e32 v1, v0, v45
	ds_write2_b32 v51, v0, v1 offset0:14 offset1:15
.LBB2_149:                              ;   in Loop: Header=BB2_22 Depth=1
	s_or_b64 exec, exec, s[6:7]
	s_waitcnt lgkmcnt(0)
	s_barrier
	ds_read_b32 v0, v50
	s_waitcnt lgkmcnt(0)
	s_barrier
	s_mov_b64 s[50:51], 0
	ds_write_b32 v30, v0
	s_waitcnt lgkmcnt(0)
	s_barrier
	ds_read_b32 v0, v30
	v_mov_b32_e32 v3, v54
	v_mov_b32_e32 v4, v26
	s_waitcnt lgkmcnt(0)
	flat_store_dword v[32:33], v0
	s_waitcnt vmcnt(0) lgkmcnt(0)
	s_barrier
	ds_read_b32 v0, v29 offset:8576
	s_branch .LBB2_151
.LBB2_150:                              ;   in Loop: Header=BB2_151 Depth=2
	s_or_b64 exec, exec, s[6:7]
	v_add_u32_e32 v4, s72, v4
	v_cmp_lt_u32_e32 vcc, s89, v4
	s_or_b64 s[50:51], vcc, s[50:51]
	v_add_u32_e32 v3, s82, v3
	s_andn2_b64 exec, exec, s[50:51]
	s_cbranch_execz .LBB2_155
.LBB2_151:                              ;   Parent Loop BB2_22 Depth=1
                                        ; =>  This Inner Loop Header: Depth=2
	v_cmp_ne_u32_e32 vcc, 0, v4
	v_mov_b32_e32 v2, 0
	s_and_saveexec_b64 s[6:7], vcc
	s_cbranch_execz .LBB2_153
; %bb.152:                              ;   in Loop: Header=BB2_151 Depth=2
	ds_read_b32 v2, v3
.LBB2_153:                              ;   in Loop: Header=BB2_151 Depth=2
	s_or_b64 exec, exec, s[6:7]
	ds_read_b32 v5, v3 offset:4
	s_waitcnt lgkmcnt(1)
	v_cmp_gt_i32_e32 vcc, v38, v2
	s_waitcnt lgkmcnt(0)
	v_cmp_ge_i32_e64 s[6:7], v5, v38
	s_and_b64 s[52:53], vcc, s[6:7]
	s_and_saveexec_b64 s[6:7], s[52:53]
	s_cbranch_execz .LBB2_150
; %bb.154:                              ;   in Loop: Header=BB2_151 Depth=2
	v_sub_u32_e32 v1, v38, v2
	v_sub_u32_e32 v2, v5, v2
	v_lshl_or_b32 v0, v4, s56, v0
	ds_write_b96 v29, v[0:2] offset:8576
	s_branch .LBB2_150
.LBB2_155:                              ;   in Loop: Header=BB2_22 Depth=1
	s_or_b64 exec, exec, s[50:51]
	s_cmp_eq_u32 s90, 3
	s_waitcnt lgkmcnt(0)
	s_barrier
	s_cbranch_scc0 .LBB2_640
; %bb.156:                              ;   in Loop: Header=BB2_22 Depth=1
	ds_read_b64 v[38:39], v29 offset:8576
	s_and_saveexec_b64 s[6:7], s[10:11]
	s_cbranch_execz .LBB2_158
; %bb.157:                              ;   in Loop: Header=BB2_22 Depth=1
	s_waitcnt lgkmcnt(0)
	global_store_dword v29, v39, s[24:25]
	global_store_dword v29, v38, s[24:25] offset:12
.LBB2_158:                              ;   in Loop: Header=BB2_22 Depth=1
	s_or_b64 exec, exec, s[6:7]
	v_mov_b32_e32 v40, v24
	s_and_saveexec_b64 s[6:7], s[4:5]
	s_cbranch_execz .LBB2_514
; %bb.159:                              ;   in Loop: Header=BB2_22 Depth=1
	s_mov_b64 s[50:51], 0
	v_pk_mov_b32 v[42:43], v[22:23], v[22:23] op_sel:[0,1]
	v_pk_mov_b32 v[40:41], v[20:21], v[20:21] op_sel:[0,1]
	s_branch .LBB2_161
.LBB2_160:                              ;   in Loop: Header=BB2_161 Depth=2
	s_or_b64 exec, exec, s[52:53]
	v_add_u32_e32 v40, s63, v40
	v_ashrrev_i32_e32 v41, 31, v40
	v_mov_b32_e32 v0, s69
	v_add_co_u32_e32 v42, vcc, s70, v40
	v_addc_co_u32_e32 v43, vcc, v0, v41, vcc
	v_cmp_le_u64_e32 vcc, s[30:31], v[42:43]
	s_or_b64 s[50:51], vcc, s[50:51]
	s_andn2_b64 exec, exec, s[50:51]
	s_cbranch_execz .LBB2_513
.LBB2_161:                              ;   Parent Loop BB2_22 Depth=1
                                        ; =>  This Inner Loop Header: Depth=2
	v_lshlrev_b64 v[0:1], 4, v[40:41]
	v_mov_b32_e32 v2, s68
	v_add_co_u32_e32 v4, vcc, s62, v0
	s_waitcnt vmcnt(0)
	v_addc_co_u32_e32 v5, vcc, v2, v1, vcc
	global_load_dwordx4 v[0:3], v[4:5], off
	v_mov_b32_e32 v6, s37
	v_add_co_u32_e32 v8, vcc, s36, v4
	v_addc_co_u32_e32 v9, vcc, v5, v6, vcc
	global_load_dwordx4 v[4:7], v[8:9], off
	v_lshl_add_u32 v10, v40, 2, s34
	s_mov_b64 s[54:55], 0
                                        ; implicit-def: $vgpr44_vgpr45
	s_waitcnt vmcnt(1)
	v_cmp_gt_i32_e32 vcc, 0, v0
	v_cndmask_b32_e64 v11, v57, 0, vcc
	v_xor_b32_e32 v28, v11, v0
	s_waitcnt lgkmcnt(0)
	v_cmp_ge_u32_e32 vcc, v28, v38
                                        ; implicit-def: $vgpr11
	s_and_saveexec_b64 s[52:53], vcc
	s_xor_b64 s[52:53], exec, s[52:53]
	s_cbranch_execz .LBB2_168
; %bb.162:                              ;   in Loop: Header=BB2_161 Depth=2
	v_cmp_eq_u32_e32 vcc, v28, v38
	s_mov_b64 s[56:57], 0
                                        ; implicit-def: $vgpr11
                                        ; implicit-def: $vgpr44_vgpr45
	s_and_saveexec_b64 s[54:55], vcc
	s_cbranch_execz .LBB2_180
; %bb.163:                              ;   in Loop: Header=BB2_161 Depth=2
	s_mov_b64 s[58:59], exec
	v_mbcnt_lo_u32_b32 v11, s58, 0
	v_mbcnt_hi_u32_b32 v11, s59, v11
	v_cmp_eq_u32_e32 vcc, 0, v11
                                        ; implicit-def: $vgpr28
	s_and_saveexec_b64 s[56:57], vcc
	s_cbranch_execz .LBB2_165
; %bb.164:                              ;   in Loop: Header=BB2_161 Depth=2
	s_bcnt1_i32_b64 s40, s[58:59]
	v_mov_b32_e32 v28, s40
	global_atomic_add v28, v29, v28, s[24:25] offset:512 glc
.LBB2_165:                              ;   in Loop: Header=BB2_161 Depth=2
	s_or_b64 exec, exec, s[56:57]
	s_waitcnt vmcnt(0)
	v_readfirstlane_b32 s40, v28
	v_add_u32_e32 v28, s40, v11
	v_cmp_lt_i32_e32 vcc, v28, v39
	s_mov_b64 s[58:59], 0
                                        ; implicit-def: $vgpr11
                                        ; implicit-def: $vgpr44_vgpr45
	s_and_saveexec_b64 s[56:57], vcc
	s_xor_b64 s[56:57], exec, s[56:57]
	s_cbranch_execz .LBB2_179
; %bb.166:                              ;   in Loop: Header=BB2_161 Depth=2
	v_xad_u32 v44, v28, -1, s71
	v_ashrrev_i32_e32 v45, 31, v44
	v_lshlrev_b64 v[46:47], 2, v[44:45]
	v_mov_b32_e32 v11, s61
	v_add_co_u32_e32 v46, vcc, s60, v46
	v_addc_co_u32_e32 v47, vcc, v11, v47, vcc
	s_andn2_b64 vcc, exec, s[26:27]
	global_store_dword v[46:47], v0, off
	s_cbranch_vccnz .LBB2_176
; %bb.167:                              ;   in Loop: Header=BB2_161 Depth=2
	v_ashrrev_i32_e32 v11, 31, v10
	v_lshlrev_b64 v[46:47], 2, v[10:11]
	v_mov_b32_e32 v11, s23
	v_add_co_u32_e32 v46, vcc, s22, v46
	v_addc_co_u32_e32 v47, vcc, v11, v47, vcc
	global_load_dword v11, v[46:47], off
	s_andn2_b64 vcc, exec, s[58:59]
	s_cbranch_vccz .LBB2_177
	s_branch .LBB2_178
.LBB2_168:                              ;   in Loop: Header=BB2_161 Depth=2
	s_andn2_saveexec_b64 s[52:53], s[52:53]
	s_cbranch_execz .LBB2_181
.LBB2_169:                              ;   in Loop: Header=BB2_161 Depth=2
	s_mov_b64 s[58:59], exec
	s_waitcnt vmcnt(0)
	v_mbcnt_lo_u32_b32 v11, s58, 0
	v_mbcnt_hi_u32_b32 v11, s59, v11
	v_cmp_eq_u32_e32 vcc, 0, v11
                                        ; implicit-def: $vgpr28
	s_and_saveexec_b64 s[56:57], vcc
	s_cbranch_execz .LBB2_171
; %bb.170:                              ;   in Loop: Header=BB2_161 Depth=2
	s_bcnt1_i32_b64 s40, s[58:59]
	v_mov_b32_e32 v28, s40
	global_atomic_add v28, v29, v28, s[24:25] offset:384 glc
.LBB2_171:                              ;   in Loop: Header=BB2_161 Depth=2
	s_or_b64 exec, exec, s[56:57]
	s_waitcnt vmcnt(0)
	v_readfirstlane_b32 s40, v28
	v_add_u32_e32 v44, s40, v11
	v_ashrrev_i32_e32 v45, 31, v44
	v_lshlrev_b64 v[46:47], 2, v[44:45]
	v_mov_b32_e32 v11, s61
	v_add_co_u32_e32 v46, vcc, s60, v46
	v_addc_co_u32_e32 v47, vcc, v11, v47, vcc
	s_andn2_b64 vcc, exec, s[26:27]
	global_store_dword v[46:47], v0, off
	s_cbranch_vccnz .LBB2_173
; %bb.172:                              ;   in Loop: Header=BB2_161 Depth=2
	v_ashrrev_i32_e32 v11, 31, v10
	v_lshlrev_b64 v[46:47], 2, v[10:11]
	v_mov_b32_e32 v0, s23
	v_add_co_u32_e32 v46, vcc, s22, v46
	v_addc_co_u32_e32 v47, vcc, v0, v47, vcc
	global_load_dword v11, v[46:47], off
	s_cbranch_execz .LBB2_174
	s_branch .LBB2_175
.LBB2_173:                              ;   in Loop: Header=BB2_161 Depth=2
                                        ; implicit-def: $vgpr11
.LBB2_174:                              ;   in Loop: Header=BB2_161 Depth=2
	s_waitcnt vmcnt(0)
	v_add_u32_e32 v11, s20, v10
.LBB2_175:                              ;   in Loop: Header=BB2_161 Depth=2
	s_or_b64 s[54:55], s[54:55], exec
	s_or_b64 exec, exec, s[52:53]
	s_and_saveexec_b64 s[52:53], s[54:55]
	s_cbranch_execnz .LBB2_182
	s_branch .LBB2_183
.LBB2_176:                              ;   in Loop: Header=BB2_161 Depth=2
                                        ; implicit-def: $vgpr11
.LBB2_177:                              ;   in Loop: Header=BB2_161 Depth=2
	s_waitcnt vmcnt(0)
	v_add_u32_e32 v11, s20, v10
.LBB2_178:                              ;   in Loop: Header=BB2_161 Depth=2
	s_mov_b64 s[58:59], exec
.LBB2_179:                              ;   in Loop: Header=BB2_161 Depth=2
	s_or_b64 exec, exec, s[56:57]
	s_and_b64 s[56:57], s[58:59], exec
.LBB2_180:                              ;   in Loop: Header=BB2_161 Depth=2
	s_or_b64 exec, exec, s[54:55]
	s_and_b64 s[54:55], s[56:57], exec
	s_andn2_saveexec_b64 s[52:53], s[52:53]
	s_cbranch_execnz .LBB2_169
.LBB2_181:                              ;   in Loop: Header=BB2_161 Depth=2
	s_or_b64 exec, exec, s[52:53]
	s_and_saveexec_b64 s[52:53], s[54:55]
	s_cbranch_execz .LBB2_183
.LBB2_182:                              ;   in Loop: Header=BB2_161 Depth=2
	v_lshlrev_b64 v[44:45], 2, v[44:45]
	v_mov_b32_e32 v0, s33
	v_add_co_u32_e32 v44, vcc, s21, v44
	v_addc_co_u32_e32 v45, vcc, v0, v45, vcc
	s_waitcnt vmcnt(0)
	global_store_dword v[44:45], v11, off
.LBB2_183:                              ;   in Loop: Header=BB2_161 Depth=2
	s_or_b64 exec, exec, s[52:53]
	v_cmp_gt_i32_e32 vcc, 0, v1
	s_waitcnt vmcnt(0)
	v_cndmask_b32_e64 v11, v57, 0, vcc
	v_xor_b32_e32 v28, v11, v1
	v_add_u32_e32 v0, 1, v10
	v_cmp_ge_u32_e32 vcc, v28, v38
	s_mov_b64 s[54:55], 0
                                        ; implicit-def: $vgpr11
                                        ; implicit-def: $vgpr44_vgpr45
	s_and_saveexec_b64 s[52:53], vcc
	s_xor_b64 s[52:53], exec, s[52:53]
	s_cbranch_execz .LBB2_190
; %bb.184:                              ;   in Loop: Header=BB2_161 Depth=2
	v_cmp_eq_u32_e32 vcc, v28, v38
	s_mov_b64 s[56:57], 0
                                        ; implicit-def: $vgpr11
                                        ; implicit-def: $vgpr44_vgpr45
	s_and_saveexec_b64 s[54:55], vcc
	s_cbranch_execz .LBB2_202
; %bb.185:                              ;   in Loop: Header=BB2_161 Depth=2
	s_mov_b64 s[58:59], exec
	v_mbcnt_lo_u32_b32 v11, s58, 0
	v_mbcnt_hi_u32_b32 v11, s59, v11
	v_cmp_eq_u32_e32 vcc, 0, v11
                                        ; implicit-def: $vgpr28
	s_and_saveexec_b64 s[56:57], vcc
	s_cbranch_execz .LBB2_187
; %bb.186:                              ;   in Loop: Header=BB2_161 Depth=2
	s_bcnt1_i32_b64 s40, s[58:59]
	v_mov_b32_e32 v28, s40
	global_atomic_add v28, v29, v28, s[24:25] offset:512 glc
.LBB2_187:                              ;   in Loop: Header=BB2_161 Depth=2
	s_or_b64 exec, exec, s[56:57]
	s_waitcnt vmcnt(0)
	v_readfirstlane_b32 s40, v28
	v_add_u32_e32 v28, s40, v11
	v_cmp_lt_i32_e32 vcc, v28, v39
	s_mov_b64 s[58:59], 0
                                        ; implicit-def: $vgpr11
                                        ; implicit-def: $vgpr44_vgpr45
	s_and_saveexec_b64 s[56:57], vcc
	s_cbranch_execz .LBB2_201
; %bb.188:                              ;   in Loop: Header=BB2_161 Depth=2
	v_xad_u32 v44, v28, -1, s71
	v_ashrrev_i32_e32 v45, 31, v44
	v_lshlrev_b64 v[46:47], 2, v[44:45]
	v_mov_b32_e32 v11, s61
	v_add_co_u32_e32 v46, vcc, s60, v46
	v_addc_co_u32_e32 v47, vcc, v11, v47, vcc
	s_andn2_b64 vcc, exec, s[26:27]
	global_store_dword v[46:47], v1, off
	s_cbranch_vccnz .LBB2_198
; %bb.189:                              ;   in Loop: Header=BB2_161 Depth=2
	v_ashrrev_i32_e32 v11, 31, v10
	v_lshlrev_b64 v[46:47], 2, v[10:11]
	v_mov_b32_e32 v11, s35
	v_add_co_u32_e32 v46, vcc, s29, v46
	v_addc_co_u32_e32 v47, vcc, v11, v47, vcc
	global_load_dword v11, v[46:47], off
	s_andn2_b64 vcc, exec, s[58:59]
	s_cbranch_vccz .LBB2_199
	s_branch .LBB2_200
.LBB2_190:                              ;   in Loop: Header=BB2_161 Depth=2
	s_andn2_saveexec_b64 s[52:53], s[52:53]
	s_cbranch_execz .LBB2_203
.LBB2_191:                              ;   in Loop: Header=BB2_161 Depth=2
	s_mov_b64 s[58:59], exec
	s_waitcnt vmcnt(0)
	v_mbcnt_lo_u32_b32 v11, s58, 0
	v_mbcnt_hi_u32_b32 v11, s59, v11
	v_cmp_eq_u32_e32 vcc, 0, v11
                                        ; implicit-def: $vgpr28
	s_and_saveexec_b64 s[56:57], vcc
	s_cbranch_execz .LBB2_193
; %bb.192:                              ;   in Loop: Header=BB2_161 Depth=2
	s_bcnt1_i32_b64 s40, s[58:59]
	v_mov_b32_e32 v28, s40
	global_atomic_add v28, v29, v28, s[24:25] offset:384 glc
.LBB2_193:                              ;   in Loop: Header=BB2_161 Depth=2
	s_or_b64 exec, exec, s[56:57]
	s_waitcnt vmcnt(0)
	v_readfirstlane_b32 s40, v28
	v_add_u32_e32 v44, s40, v11
	v_ashrrev_i32_e32 v45, 31, v44
	v_lshlrev_b64 v[46:47], 2, v[44:45]
	v_mov_b32_e32 v11, s61
	v_add_co_u32_e32 v46, vcc, s60, v46
	v_addc_co_u32_e32 v47, vcc, v11, v47, vcc
	s_andn2_b64 vcc, exec, s[26:27]
	global_store_dword v[46:47], v1, off
	s_cbranch_vccnz .LBB2_195
; %bb.194:                              ;   in Loop: Header=BB2_161 Depth=2
	v_ashrrev_i32_e32 v11, 31, v10
	v_lshlrev_b64 v[46:47], 2, v[10:11]
	v_mov_b32_e32 v1, s35
	v_add_co_u32_e32 v46, vcc, s29, v46
	v_addc_co_u32_e32 v47, vcc, v1, v47, vcc
	global_load_dword v11, v[46:47], off
	s_cbranch_execz .LBB2_196
	s_branch .LBB2_197
.LBB2_195:                              ;   in Loop: Header=BB2_161 Depth=2
                                        ; implicit-def: $vgpr11
.LBB2_196:                              ;   in Loop: Header=BB2_161 Depth=2
	s_waitcnt vmcnt(0)
	v_add_u32_e32 v11, s20, v0
.LBB2_197:                              ;   in Loop: Header=BB2_161 Depth=2
	s_or_b64 s[54:55], s[54:55], exec
	s_or_b64 exec, exec, s[52:53]
	s_and_saveexec_b64 s[52:53], s[54:55]
	s_cbranch_execnz .LBB2_204
	s_branch .LBB2_205
.LBB2_198:                              ;   in Loop: Header=BB2_161 Depth=2
                                        ; implicit-def: $vgpr11
.LBB2_199:                              ;   in Loop: Header=BB2_161 Depth=2
	s_waitcnt vmcnt(0)
	v_add_u32_e32 v11, s20, v0
.LBB2_200:                              ;   in Loop: Header=BB2_161 Depth=2
	s_mov_b64 s[58:59], exec
.LBB2_201:                              ;   in Loop: Header=BB2_161 Depth=2
	s_or_b64 exec, exec, s[56:57]
	s_and_b64 s[56:57], s[58:59], exec
.LBB2_202:                              ;   in Loop: Header=BB2_161 Depth=2
	s_or_b64 exec, exec, s[54:55]
	s_and_b64 s[54:55], s[56:57], exec
                                        ; implicit-def: $vgpr0
	s_andn2_saveexec_b64 s[52:53], s[52:53]
	s_cbranch_execnz .LBB2_191
.LBB2_203:                              ;   in Loop: Header=BB2_161 Depth=2
	s_or_b64 exec, exec, s[52:53]
	s_and_saveexec_b64 s[52:53], s[54:55]
	s_cbranch_execz .LBB2_205
.LBB2_204:                              ;   in Loop: Header=BB2_161 Depth=2
	v_lshlrev_b64 v[0:1], 2, v[44:45]
	v_mov_b32_e32 v28, s33
	v_add_co_u32_e32 v0, vcc, s21, v0
	v_addc_co_u32_e32 v1, vcc, v28, v1, vcc
	s_waitcnt vmcnt(0)
	global_store_dword v[0:1], v11, off
.LBB2_205:                              ;   in Loop: Header=BB2_161 Depth=2
	s_or_b64 exec, exec, s[52:53]
	v_cmp_gt_i32_e32 vcc, 0, v2
	v_cndmask_b32_e64 v0, v57, 0, vcc
	v_xor_b32_e32 v35, v0, v2
	v_add_u32_e32 v28, 2, v10
	v_cmp_ge_u32_e32 vcc, v35, v38
	s_mov_b64 s[54:55], 0
                                        ; implicit-def: $vgpr11
                                        ; implicit-def: $vgpr0_vgpr1
	s_and_saveexec_b64 s[52:53], vcc
	s_xor_b64 s[52:53], exec, s[52:53]
	s_cbranch_execz .LBB2_212
; %bb.206:                              ;   in Loop: Header=BB2_161 Depth=2
	v_cmp_eq_u32_e32 vcc, v35, v38
	s_mov_b64 s[56:57], 0
                                        ; implicit-def: $vgpr11
                                        ; implicit-def: $vgpr0_vgpr1
	s_and_saveexec_b64 s[54:55], vcc
	s_cbranch_execz .LBB2_224
; %bb.207:                              ;   in Loop: Header=BB2_161 Depth=2
	s_mov_b64 s[58:59], exec
	v_mbcnt_lo_u32_b32 v0, s58, 0
	v_mbcnt_hi_u32_b32 v0, s59, v0
	v_cmp_eq_u32_e32 vcc, 0, v0
                                        ; implicit-def: $vgpr1
	s_and_saveexec_b64 s[56:57], vcc
	s_cbranch_execz .LBB2_209
; %bb.208:                              ;   in Loop: Header=BB2_161 Depth=2
	s_bcnt1_i32_b64 s40, s[58:59]
	v_mov_b32_e32 v1, s40
	global_atomic_add v1, v29, v1, s[24:25] offset:512 glc
.LBB2_209:                              ;   in Loop: Header=BB2_161 Depth=2
	s_or_b64 exec, exec, s[56:57]
	s_waitcnt vmcnt(0)
	v_readfirstlane_b32 s40, v1
	v_add_u32_e32 v35, s40, v0
	v_cmp_lt_i32_e32 vcc, v35, v39
	s_mov_b64 s[58:59], 0
                                        ; implicit-def: $vgpr11
                                        ; implicit-def: $vgpr0_vgpr1
	s_and_saveexec_b64 s[56:57], vcc
	s_cbranch_execz .LBB2_223
; %bb.210:                              ;   in Loop: Header=BB2_161 Depth=2
	v_xad_u32 v0, v35, -1, s71
	v_ashrrev_i32_e32 v1, 31, v0
	v_lshlrev_b64 v[44:45], 2, v[0:1]
	v_mov_b32_e32 v11, s61
	v_add_co_u32_e32 v44, vcc, s60, v44
	v_addc_co_u32_e32 v45, vcc, v11, v45, vcc
	s_andn2_b64 vcc, exec, s[26:27]
	global_store_dword v[44:45], v2, off
	s_cbranch_vccnz .LBB2_220
; %bb.211:                              ;   in Loop: Header=BB2_161 Depth=2
	v_ashrrev_i32_e32 v11, 31, v10
	v_lshlrev_b64 v[44:45], 2, v[10:11]
	v_mov_b32_e32 v11, s65
	v_add_co_u32_e32 v44, vcc, s64, v44
	v_addc_co_u32_e32 v45, vcc, v11, v45, vcc
	global_load_dword v11, v[44:45], off
	s_andn2_b64 vcc, exec, s[58:59]
	s_cbranch_vccz .LBB2_221
	s_branch .LBB2_222
.LBB2_212:                              ;   in Loop: Header=BB2_161 Depth=2
	s_andn2_saveexec_b64 s[52:53], s[52:53]
	s_cbranch_execz .LBB2_225
.LBB2_213:                              ;   in Loop: Header=BB2_161 Depth=2
	s_mov_b64 s[58:59], exec
	v_mbcnt_lo_u32_b32 v0, s58, 0
	v_mbcnt_hi_u32_b32 v0, s59, v0
	v_cmp_eq_u32_e32 vcc, 0, v0
                                        ; implicit-def: $vgpr1
	s_and_saveexec_b64 s[56:57], vcc
	s_cbranch_execz .LBB2_215
; %bb.214:                              ;   in Loop: Header=BB2_161 Depth=2
	s_bcnt1_i32_b64 s40, s[58:59]
	v_mov_b32_e32 v1, s40
	global_atomic_add v1, v29, v1, s[24:25] offset:384 glc
.LBB2_215:                              ;   in Loop: Header=BB2_161 Depth=2
	s_or_b64 exec, exec, s[56:57]
	s_waitcnt vmcnt(0)
	v_readfirstlane_b32 s40, v1
	v_add_u32_e32 v0, s40, v0
	v_ashrrev_i32_e32 v1, 31, v0
	v_lshlrev_b64 v[44:45], 2, v[0:1]
	v_mov_b32_e32 v11, s61
	v_add_co_u32_e32 v44, vcc, s60, v44
	v_addc_co_u32_e32 v45, vcc, v11, v45, vcc
	s_andn2_b64 vcc, exec, s[26:27]
	global_store_dword v[44:45], v2, off
	s_cbranch_vccnz .LBB2_217
; %bb.216:                              ;   in Loop: Header=BB2_161 Depth=2
	v_ashrrev_i32_e32 v11, 31, v10
	v_lshlrev_b64 v[44:45], 2, v[10:11]
	v_mov_b32_e32 v2, s65
	v_add_co_u32_e32 v44, vcc, s64, v44
	v_addc_co_u32_e32 v45, vcc, v2, v45, vcc
	global_load_dword v11, v[44:45], off
	s_cbranch_execz .LBB2_218
	s_branch .LBB2_219
.LBB2_217:                              ;   in Loop: Header=BB2_161 Depth=2
                                        ; implicit-def: $vgpr11
.LBB2_218:                              ;   in Loop: Header=BB2_161 Depth=2
	s_waitcnt vmcnt(0)
	v_add_u32_e32 v11, s20, v28
.LBB2_219:                              ;   in Loop: Header=BB2_161 Depth=2
	s_or_b64 s[54:55], s[54:55], exec
	s_or_b64 exec, exec, s[52:53]
	s_and_saveexec_b64 s[52:53], s[54:55]
	s_cbranch_execnz .LBB2_226
	s_branch .LBB2_227
.LBB2_220:                              ;   in Loop: Header=BB2_161 Depth=2
                                        ; implicit-def: $vgpr11
.LBB2_221:                              ;   in Loop: Header=BB2_161 Depth=2
	s_waitcnt vmcnt(0)
	v_add_u32_e32 v11, s20, v28
.LBB2_222:                              ;   in Loop: Header=BB2_161 Depth=2
	s_mov_b64 s[58:59], exec
.LBB2_223:                              ;   in Loop: Header=BB2_161 Depth=2
	s_or_b64 exec, exec, s[56:57]
	s_and_b64 s[56:57], s[58:59], exec
.LBB2_224:                              ;   in Loop: Header=BB2_161 Depth=2
	s_or_b64 exec, exec, s[54:55]
	s_and_b64 s[54:55], s[56:57], exec
                                        ; implicit-def: $vgpr28
	s_andn2_saveexec_b64 s[52:53], s[52:53]
	s_cbranch_execnz .LBB2_213
.LBB2_225:                              ;   in Loop: Header=BB2_161 Depth=2
	s_or_b64 exec, exec, s[52:53]
	s_and_saveexec_b64 s[52:53], s[54:55]
	s_cbranch_execz .LBB2_227
.LBB2_226:                              ;   in Loop: Header=BB2_161 Depth=2
	v_lshlrev_b64 v[0:1], 2, v[0:1]
	v_mov_b32_e32 v2, s33
	v_add_co_u32_e32 v0, vcc, s21, v0
	v_addc_co_u32_e32 v1, vcc, v2, v1, vcc
	s_waitcnt vmcnt(0)
	global_store_dword v[0:1], v11, off
.LBB2_227:                              ;   in Loop: Header=BB2_161 Depth=2
	s_or_b64 exec, exec, s[52:53]
	v_cmp_gt_i32_e32 vcc, 0, v3
	v_cndmask_b32_e64 v0, v57, 0, vcc
	v_xor_b32_e32 v0, v0, v3
	v_add_u32_e32 v28, 3, v10
	v_cmp_ge_u32_e32 vcc, v0, v38
	s_mov_b64 s[54:55], 0
                                        ; implicit-def: $vgpr11
                                        ; implicit-def: $vgpr44_vgpr45
	s_and_saveexec_b64 s[52:53], vcc
	s_xor_b64 s[52:53], exec, s[52:53]
	s_cbranch_execz .LBB2_234
; %bb.228:                              ;   in Loop: Header=BB2_161 Depth=2
	v_cmp_eq_u32_e32 vcc, v0, v38
	s_mov_b64 s[56:57], 0
                                        ; implicit-def: $vgpr11
                                        ; implicit-def: $vgpr44_vgpr45
	s_and_saveexec_b64 s[54:55], vcc
	s_cbranch_execz .LBB2_246
; %bb.229:                              ;   in Loop: Header=BB2_161 Depth=2
	s_mov_b64 s[58:59], exec
	v_mbcnt_lo_u32_b32 v0, s58, 0
	v_mbcnt_hi_u32_b32 v0, s59, v0
	v_cmp_eq_u32_e32 vcc, 0, v0
                                        ; implicit-def: $vgpr1
	s_and_saveexec_b64 s[56:57], vcc
	s_cbranch_execz .LBB2_231
; %bb.230:                              ;   in Loop: Header=BB2_161 Depth=2
	s_bcnt1_i32_b64 s40, s[58:59]
	v_mov_b32_e32 v1, s40
	global_atomic_add v1, v29, v1, s[24:25] offset:512 glc
.LBB2_231:                              ;   in Loop: Header=BB2_161 Depth=2
	s_or_b64 exec, exec, s[56:57]
	s_waitcnt vmcnt(0)
	v_readfirstlane_b32 s40, v1
	v_add_u32_e32 v0, s40, v0
	v_cmp_lt_i32_e32 vcc, v0, v39
	s_mov_b64 s[58:59], 0
                                        ; implicit-def: $vgpr11
                                        ; implicit-def: $vgpr44_vgpr45
	s_and_saveexec_b64 s[56:57], vcc
	s_cbranch_execz .LBB2_245
; %bb.232:                              ;   in Loop: Header=BB2_161 Depth=2
	v_xad_u32 v44, v0, -1, s71
	v_ashrrev_i32_e32 v45, 31, v44
	v_lshlrev_b64 v[0:1], 2, v[44:45]
	v_mov_b32_e32 v2, s61
	v_add_co_u32_e32 v0, vcc, s60, v0
	v_addc_co_u32_e32 v1, vcc, v2, v1, vcc
	s_andn2_b64 vcc, exec, s[26:27]
	global_store_dword v[0:1], v3, off
	s_cbranch_vccnz .LBB2_242
; %bb.233:                              ;   in Loop: Header=BB2_161 Depth=2
	v_ashrrev_i32_e32 v11, 31, v10
	v_lshlrev_b64 v[0:1], 2, v[10:11]
	v_mov_b32_e32 v2, s67
	v_add_co_u32_e32 v0, vcc, s66, v0
	v_addc_co_u32_e32 v1, vcc, v2, v1, vcc
	global_load_dword v11, v[0:1], off
	s_andn2_b64 vcc, exec, s[58:59]
	s_cbranch_vccz .LBB2_243
	s_branch .LBB2_244
.LBB2_234:                              ;   in Loop: Header=BB2_161 Depth=2
	s_andn2_saveexec_b64 s[52:53], s[52:53]
	s_cbranch_execz .LBB2_247
.LBB2_235:                              ;   in Loop: Header=BB2_161 Depth=2
	s_mov_b64 s[58:59], exec
	v_mbcnt_lo_u32_b32 v0, s58, 0
	v_mbcnt_hi_u32_b32 v0, s59, v0
	v_cmp_eq_u32_e32 vcc, 0, v0
                                        ; implicit-def: $vgpr1
	s_and_saveexec_b64 s[56:57], vcc
	s_cbranch_execz .LBB2_237
; %bb.236:                              ;   in Loop: Header=BB2_161 Depth=2
	s_bcnt1_i32_b64 s40, s[58:59]
	v_mov_b32_e32 v1, s40
	global_atomic_add v1, v29, v1, s[24:25] offset:384 glc
.LBB2_237:                              ;   in Loop: Header=BB2_161 Depth=2
	s_or_b64 exec, exec, s[56:57]
	s_waitcnt vmcnt(0)
	v_readfirstlane_b32 s40, v1
	v_add_u32_e32 v44, s40, v0
	v_ashrrev_i32_e32 v45, 31, v44
	v_lshlrev_b64 v[0:1], 2, v[44:45]
	v_mov_b32_e32 v2, s61
	v_add_co_u32_e32 v0, vcc, s60, v0
	v_addc_co_u32_e32 v1, vcc, v2, v1, vcc
	s_andn2_b64 vcc, exec, s[26:27]
	global_store_dword v[0:1], v3, off
	s_cbranch_vccnz .LBB2_239
; %bb.238:                              ;   in Loop: Header=BB2_161 Depth=2
	v_ashrrev_i32_e32 v11, 31, v10
	v_lshlrev_b64 v[0:1], 2, v[10:11]
	v_mov_b32_e32 v2, s67
	v_add_co_u32_e32 v0, vcc, s66, v0
	v_addc_co_u32_e32 v1, vcc, v2, v1, vcc
	global_load_dword v11, v[0:1], off
	s_cbranch_execz .LBB2_240
	s_branch .LBB2_241
.LBB2_239:                              ;   in Loop: Header=BB2_161 Depth=2
                                        ; implicit-def: $vgpr11
.LBB2_240:                              ;   in Loop: Header=BB2_161 Depth=2
	s_waitcnt vmcnt(0)
	v_add_u32_e32 v11, s20, v28
.LBB2_241:                              ;   in Loop: Header=BB2_161 Depth=2
	s_or_b64 s[54:55], s[54:55], exec
	s_or_b64 exec, exec, s[52:53]
	s_and_saveexec_b64 s[52:53], s[54:55]
	s_cbranch_execnz .LBB2_248
	s_branch .LBB2_249
.LBB2_242:                              ;   in Loop: Header=BB2_161 Depth=2
                                        ; implicit-def: $vgpr11
.LBB2_243:                              ;   in Loop: Header=BB2_161 Depth=2
	s_waitcnt vmcnt(0)
	v_add_u32_e32 v11, s20, v28
.LBB2_244:                              ;   in Loop: Header=BB2_161 Depth=2
	s_mov_b64 s[58:59], exec
.LBB2_245:                              ;   in Loop: Header=BB2_161 Depth=2
	s_or_b64 exec, exec, s[56:57]
	s_and_b64 s[56:57], s[58:59], exec
.LBB2_246:                              ;   in Loop: Header=BB2_161 Depth=2
	s_or_b64 exec, exec, s[54:55]
	s_and_b64 s[54:55], s[56:57], exec
                                        ; implicit-def: $vgpr28
                                        ; implicit-def: $vgpr10
                                        ; implicit-def: $vgpr0_vgpr1_vgpr2_vgpr3
	s_andn2_saveexec_b64 s[52:53], s[52:53]
	s_cbranch_execnz .LBB2_235
.LBB2_247:                              ;   in Loop: Header=BB2_161 Depth=2
	s_or_b64 exec, exec, s[52:53]
	s_and_saveexec_b64 s[52:53], s[54:55]
	s_cbranch_execz .LBB2_249
.LBB2_248:                              ;   in Loop: Header=BB2_161 Depth=2
	v_lshlrev_b64 v[0:1], 2, v[44:45]
	v_mov_b32_e32 v2, s33
	v_add_co_u32_e32 v0, vcc, s21, v0
	v_addc_co_u32_e32 v1, vcc, v2, v1, vcc
	s_waitcnt vmcnt(0)
	global_store_dword v[0:1], v11, off
.LBB2_249:                              ;   in Loop: Header=BB2_161 Depth=2
	s_or_b64 exec, exec, s[52:53]
	v_mov_b32_e32 v1, s37
	v_add_co_u32_e32 v0, vcc, s36, v8
	v_addc_co_u32_e32 v1, vcc, v9, v1, vcc
	v_lshlrev_b64 v[2:3], 4, v[42:43]
	v_mov_b32_e32 v8, s68
	v_add_co_u32_e32 v2, vcc, s62, v2
	v_addc_co_u32_e32 v3, vcc, v8, v3, vcc
	global_load_dwordx4 v[8:11], v[0:1], off
	s_nop 0
	global_load_dwordx4 v[0:3], v[2:3], off
	v_add_co_u32_e32 v28, vcc, s28, v40
	v_cmp_gt_i32_e32 vcc, 0, v4
	v_cndmask_b32_e64 v35, v57, 0, vcc
	v_xor_b32_e32 v41, v35, v4
	v_lshl_add_u32 v44, v28, 2, s34
	v_cmp_ge_u32_e32 vcc, v41, v38
	s_mov_b64 s[54:55], 0
                                        ; implicit-def: $vgpr35
                                        ; implicit-def: $vgpr46_vgpr47
	s_and_saveexec_b64 s[52:53], vcc
	s_xor_b64 s[52:53], exec, s[52:53]
	s_cbranch_execz .LBB2_256
; %bb.250:                              ;   in Loop: Header=BB2_161 Depth=2
	v_cmp_eq_u32_e32 vcc, v41, v38
	s_mov_b64 s[56:57], 0
                                        ; implicit-def: $vgpr35
                                        ; implicit-def: $vgpr46_vgpr47
	s_and_saveexec_b64 s[54:55], vcc
	s_cbranch_execz .LBB2_268
; %bb.251:                              ;   in Loop: Header=BB2_161 Depth=2
	s_mov_b64 s[58:59], exec
	v_mbcnt_lo_u32_b32 v35, s58, 0
	v_mbcnt_hi_u32_b32 v35, s59, v35
	v_cmp_eq_u32_e32 vcc, 0, v35
                                        ; implicit-def: $vgpr41
	s_and_saveexec_b64 s[56:57], vcc
	s_cbranch_execz .LBB2_253
; %bb.252:                              ;   in Loop: Header=BB2_161 Depth=2
	s_bcnt1_i32_b64 s40, s[58:59]
	v_mov_b32_e32 v41, s40
	global_atomic_add v41, v29, v41, s[24:25] offset:512 glc
.LBB2_253:                              ;   in Loop: Header=BB2_161 Depth=2
	s_or_b64 exec, exec, s[56:57]
	s_waitcnt vmcnt(0)
	v_readfirstlane_b32 s40, v41
	v_add_u32_e32 v41, s40, v35
	v_cmp_lt_i32_e32 vcc, v41, v39
	s_mov_b64 s[58:59], 0
                                        ; implicit-def: $vgpr35
                                        ; implicit-def: $vgpr46_vgpr47
	s_and_saveexec_b64 s[56:57], vcc
	s_xor_b64 s[56:57], exec, s[56:57]
	s_cbranch_execz .LBB2_267
; %bb.254:                              ;   in Loop: Header=BB2_161 Depth=2
	v_xad_u32 v46, v41, -1, s71
	v_ashrrev_i32_e32 v47, 31, v46
	v_lshlrev_b64 v[60:61], 2, v[46:47]
	v_mov_b32_e32 v35, s61
	v_add_co_u32_e32 v60, vcc, s60, v60
	v_addc_co_u32_e32 v61, vcc, v35, v61, vcc
	s_andn2_b64 vcc, exec, s[26:27]
	global_store_dword v[60:61], v4, off
	s_cbranch_vccnz .LBB2_264
; %bb.255:                              ;   in Loop: Header=BB2_161 Depth=2
	v_ashrrev_i32_e32 v45, 31, v44
	v_lshlrev_b64 v[60:61], 2, v[44:45]
	v_mov_b32_e32 v35, s23
	v_add_co_u32_e32 v60, vcc, s22, v60
	v_addc_co_u32_e32 v61, vcc, v35, v61, vcc
	global_load_dword v35, v[60:61], off
	s_andn2_b64 vcc, exec, s[58:59]
	s_cbranch_vccz .LBB2_265
	s_branch .LBB2_266
.LBB2_256:                              ;   in Loop: Header=BB2_161 Depth=2
	s_andn2_saveexec_b64 s[52:53], s[52:53]
	s_cbranch_execz .LBB2_269
.LBB2_257:                              ;   in Loop: Header=BB2_161 Depth=2
	s_mov_b64 s[58:59], exec
	s_waitcnt vmcnt(0)
	v_mbcnt_lo_u32_b32 v35, s58, 0
	v_mbcnt_hi_u32_b32 v35, s59, v35
	v_cmp_eq_u32_e32 vcc, 0, v35
                                        ; implicit-def: $vgpr41
	s_and_saveexec_b64 s[56:57], vcc
	s_cbranch_execz .LBB2_259
; %bb.258:                              ;   in Loop: Header=BB2_161 Depth=2
	s_bcnt1_i32_b64 s40, s[58:59]
	v_mov_b32_e32 v41, s40
	global_atomic_add v41, v29, v41, s[24:25] offset:384 glc
.LBB2_259:                              ;   in Loop: Header=BB2_161 Depth=2
	s_or_b64 exec, exec, s[56:57]
	s_waitcnt vmcnt(0)
	v_readfirstlane_b32 s40, v41
	v_add_u32_e32 v46, s40, v35
	v_ashrrev_i32_e32 v47, 31, v46
	v_lshlrev_b64 v[60:61], 2, v[46:47]
	v_mov_b32_e32 v35, s61
	v_add_co_u32_e32 v60, vcc, s60, v60
	v_addc_co_u32_e32 v61, vcc, v35, v61, vcc
	s_andn2_b64 vcc, exec, s[26:27]
	global_store_dword v[60:61], v4, off
	s_cbranch_vccnz .LBB2_261
; %bb.260:                              ;   in Loop: Header=BB2_161 Depth=2
	v_ashrrev_i32_e32 v45, 31, v44
	v_lshlrev_b64 v[60:61], 2, v[44:45]
	v_mov_b32_e32 v4, s23
	v_add_co_u32_e32 v60, vcc, s22, v60
	v_addc_co_u32_e32 v61, vcc, v4, v61, vcc
	global_load_dword v35, v[60:61], off
	s_cbranch_execz .LBB2_262
	s_branch .LBB2_263
.LBB2_261:                              ;   in Loop: Header=BB2_161 Depth=2
                                        ; implicit-def: $vgpr35
.LBB2_262:                              ;   in Loop: Header=BB2_161 Depth=2
	s_waitcnt vmcnt(0)
	v_add_u32_e32 v35, s20, v44
.LBB2_263:                              ;   in Loop: Header=BB2_161 Depth=2
	s_or_b64 s[54:55], s[54:55], exec
	s_or_b64 exec, exec, s[52:53]
	s_and_saveexec_b64 s[52:53], s[54:55]
	s_cbranch_execnz .LBB2_270
	s_branch .LBB2_271
.LBB2_264:                              ;   in Loop: Header=BB2_161 Depth=2
                                        ; implicit-def: $vgpr35
.LBB2_265:                              ;   in Loop: Header=BB2_161 Depth=2
	s_waitcnt vmcnt(0)
	v_add_u32_e32 v35, s20, v44
.LBB2_266:                              ;   in Loop: Header=BB2_161 Depth=2
	s_mov_b64 s[58:59], exec
.LBB2_267:                              ;   in Loop: Header=BB2_161 Depth=2
	s_or_b64 exec, exec, s[56:57]
	s_and_b64 s[56:57], s[58:59], exec
.LBB2_268:                              ;   in Loop: Header=BB2_161 Depth=2
	s_or_b64 exec, exec, s[54:55]
	s_and_b64 s[54:55], s[56:57], exec
	s_andn2_saveexec_b64 s[52:53], s[52:53]
	s_cbranch_execnz .LBB2_257
.LBB2_269:                              ;   in Loop: Header=BB2_161 Depth=2
	s_or_b64 exec, exec, s[52:53]
	s_and_saveexec_b64 s[52:53], s[54:55]
	s_cbranch_execz .LBB2_271
.LBB2_270:                              ;   in Loop: Header=BB2_161 Depth=2
	v_lshlrev_b64 v[46:47], 2, v[46:47]
	v_mov_b32_e32 v4, s33
	v_add_co_u32_e32 v46, vcc, s21, v46
	v_addc_co_u32_e32 v47, vcc, v4, v47, vcc
	s_waitcnt vmcnt(0)
	global_store_dword v[46:47], v35, off
.LBB2_271:                              ;   in Loop: Header=BB2_161 Depth=2
	s_or_b64 exec, exec, s[52:53]
	v_cmp_gt_i32_e32 vcc, 0, v5
	s_waitcnt vmcnt(0)
	v_cndmask_b32_e64 v35, v57, 0, vcc
	v_xor_b32_e32 v41, v35, v5
	v_add_u32_e32 v4, 1, v44
	v_cmp_ge_u32_e32 vcc, v41, v38
	s_mov_b64 s[54:55], 0
                                        ; implicit-def: $vgpr35
                                        ; implicit-def: $vgpr46_vgpr47
	s_and_saveexec_b64 s[52:53], vcc
	s_xor_b64 s[52:53], exec, s[52:53]
	s_cbranch_execz .LBB2_278
; %bb.272:                              ;   in Loop: Header=BB2_161 Depth=2
	v_cmp_eq_u32_e32 vcc, v41, v38
	s_mov_b64 s[56:57], 0
                                        ; implicit-def: $vgpr35
                                        ; implicit-def: $vgpr46_vgpr47
	s_and_saveexec_b64 s[54:55], vcc
	s_cbranch_execz .LBB2_290
; %bb.273:                              ;   in Loop: Header=BB2_161 Depth=2
	s_mov_b64 s[58:59], exec
	v_mbcnt_lo_u32_b32 v35, s58, 0
	v_mbcnt_hi_u32_b32 v35, s59, v35
	v_cmp_eq_u32_e32 vcc, 0, v35
                                        ; implicit-def: $vgpr41
	s_and_saveexec_b64 s[56:57], vcc
	s_cbranch_execz .LBB2_275
; %bb.274:                              ;   in Loop: Header=BB2_161 Depth=2
	s_bcnt1_i32_b64 s40, s[58:59]
	v_mov_b32_e32 v41, s40
	global_atomic_add v41, v29, v41, s[24:25] offset:512 glc
.LBB2_275:                              ;   in Loop: Header=BB2_161 Depth=2
	s_or_b64 exec, exec, s[56:57]
	s_waitcnt vmcnt(0)
	v_readfirstlane_b32 s40, v41
	v_add_u32_e32 v41, s40, v35
	v_cmp_lt_i32_e32 vcc, v41, v39
	s_mov_b64 s[58:59], 0
                                        ; implicit-def: $vgpr35
                                        ; implicit-def: $vgpr46_vgpr47
	s_and_saveexec_b64 s[56:57], vcc
	s_cbranch_execz .LBB2_289
; %bb.276:                              ;   in Loop: Header=BB2_161 Depth=2
	v_xad_u32 v46, v41, -1, s71
	v_ashrrev_i32_e32 v47, 31, v46
	v_lshlrev_b64 v[60:61], 2, v[46:47]
	v_mov_b32_e32 v35, s61
	v_add_co_u32_e32 v60, vcc, s60, v60
	v_addc_co_u32_e32 v61, vcc, v35, v61, vcc
	s_andn2_b64 vcc, exec, s[26:27]
	global_store_dword v[60:61], v5, off
	s_cbranch_vccnz .LBB2_286
; %bb.277:                              ;   in Loop: Header=BB2_161 Depth=2
	v_ashrrev_i32_e32 v45, 31, v44
	v_lshlrev_b64 v[60:61], 2, v[44:45]
	v_mov_b32_e32 v35, s35
	v_add_co_u32_e32 v60, vcc, s29, v60
	v_addc_co_u32_e32 v61, vcc, v35, v61, vcc
	global_load_dword v35, v[60:61], off
	s_andn2_b64 vcc, exec, s[58:59]
	s_cbranch_vccz .LBB2_287
	s_branch .LBB2_288
.LBB2_278:                              ;   in Loop: Header=BB2_161 Depth=2
	s_andn2_saveexec_b64 s[52:53], s[52:53]
	s_cbranch_execz .LBB2_291
.LBB2_279:                              ;   in Loop: Header=BB2_161 Depth=2
	s_mov_b64 s[58:59], exec
	s_waitcnt vmcnt(0)
	v_mbcnt_lo_u32_b32 v35, s58, 0
	v_mbcnt_hi_u32_b32 v35, s59, v35
	v_cmp_eq_u32_e32 vcc, 0, v35
                                        ; implicit-def: $vgpr41
	s_and_saveexec_b64 s[56:57], vcc
	s_cbranch_execz .LBB2_281
; %bb.280:                              ;   in Loop: Header=BB2_161 Depth=2
	s_bcnt1_i32_b64 s40, s[58:59]
	v_mov_b32_e32 v41, s40
	global_atomic_add v41, v29, v41, s[24:25] offset:384 glc
.LBB2_281:                              ;   in Loop: Header=BB2_161 Depth=2
	s_or_b64 exec, exec, s[56:57]
	s_waitcnt vmcnt(0)
	v_readfirstlane_b32 s40, v41
	v_add_u32_e32 v46, s40, v35
	v_ashrrev_i32_e32 v47, 31, v46
	v_lshlrev_b64 v[60:61], 2, v[46:47]
	v_mov_b32_e32 v35, s61
	v_add_co_u32_e32 v60, vcc, s60, v60
	v_addc_co_u32_e32 v61, vcc, v35, v61, vcc
	s_andn2_b64 vcc, exec, s[26:27]
	global_store_dword v[60:61], v5, off
	s_cbranch_vccnz .LBB2_283
; %bb.282:                              ;   in Loop: Header=BB2_161 Depth=2
	v_ashrrev_i32_e32 v45, 31, v44
	v_lshlrev_b64 v[60:61], 2, v[44:45]
	v_mov_b32_e32 v5, s35
	v_add_co_u32_e32 v60, vcc, s29, v60
	v_addc_co_u32_e32 v61, vcc, v5, v61, vcc
	global_load_dword v35, v[60:61], off
	s_cbranch_execz .LBB2_284
	s_branch .LBB2_285
.LBB2_283:                              ;   in Loop: Header=BB2_161 Depth=2
                                        ; implicit-def: $vgpr35
.LBB2_284:                              ;   in Loop: Header=BB2_161 Depth=2
	s_waitcnt vmcnt(0)
	v_add_u32_e32 v35, s20, v4
.LBB2_285:                              ;   in Loop: Header=BB2_161 Depth=2
	s_or_b64 s[54:55], s[54:55], exec
	s_or_b64 exec, exec, s[52:53]
	s_and_saveexec_b64 s[52:53], s[54:55]
	s_cbranch_execnz .LBB2_292
	s_branch .LBB2_293
.LBB2_286:                              ;   in Loop: Header=BB2_161 Depth=2
                                        ; implicit-def: $vgpr35
.LBB2_287:                              ;   in Loop: Header=BB2_161 Depth=2
	s_waitcnt vmcnt(0)
	v_add_u32_e32 v35, s20, v4
.LBB2_288:                              ;   in Loop: Header=BB2_161 Depth=2
	s_mov_b64 s[58:59], exec
.LBB2_289:                              ;   in Loop: Header=BB2_161 Depth=2
	s_or_b64 exec, exec, s[56:57]
	s_and_b64 s[56:57], s[58:59], exec
.LBB2_290:                              ;   in Loop: Header=BB2_161 Depth=2
	s_or_b64 exec, exec, s[54:55]
	s_and_b64 s[54:55], s[56:57], exec
                                        ; implicit-def: $vgpr4
	s_andn2_saveexec_b64 s[52:53], s[52:53]
	s_cbranch_execnz .LBB2_279
.LBB2_291:                              ;   in Loop: Header=BB2_161 Depth=2
	s_or_b64 exec, exec, s[52:53]
	s_and_saveexec_b64 s[52:53], s[54:55]
	s_cbranch_execz .LBB2_293
.LBB2_292:                              ;   in Loop: Header=BB2_161 Depth=2
	v_lshlrev_b64 v[4:5], 2, v[46:47]
	v_mov_b32_e32 v41, s33
	v_add_co_u32_e32 v4, vcc, s21, v4
	v_addc_co_u32_e32 v5, vcc, v41, v5, vcc
	s_waitcnt vmcnt(0)
	global_store_dword v[4:5], v35, off
.LBB2_293:                              ;   in Loop: Header=BB2_161 Depth=2
	s_or_b64 exec, exec, s[52:53]
	v_cmp_gt_i32_e32 vcc, 0, v6
	v_cndmask_b32_e64 v4, v57, 0, vcc
	v_xor_b32_e32 v43, v4, v6
	s_waitcnt vmcnt(0)
	v_add_u32_e32 v35, 2, v44
	v_cmp_ge_u32_e32 vcc, v43, v38
	s_mov_b64 s[54:55], 0
                                        ; implicit-def: $vgpr41
                                        ; implicit-def: $vgpr4_vgpr5
	s_and_saveexec_b64 s[52:53], vcc
	s_xor_b64 s[52:53], exec, s[52:53]
	s_cbranch_execz .LBB2_300
; %bb.294:                              ;   in Loop: Header=BB2_161 Depth=2
	v_cmp_eq_u32_e32 vcc, v43, v38
	s_mov_b64 s[56:57], 0
                                        ; implicit-def: $vgpr41
                                        ; implicit-def: $vgpr4_vgpr5
	s_and_saveexec_b64 s[54:55], vcc
	s_cbranch_execz .LBB2_312
; %bb.295:                              ;   in Loop: Header=BB2_161 Depth=2
	s_mov_b64 s[58:59], exec
	v_mbcnt_lo_u32_b32 v4, s58, 0
	v_mbcnt_hi_u32_b32 v4, s59, v4
	v_cmp_eq_u32_e32 vcc, 0, v4
                                        ; implicit-def: $vgpr5
	s_and_saveexec_b64 s[56:57], vcc
	s_cbranch_execz .LBB2_297
; %bb.296:                              ;   in Loop: Header=BB2_161 Depth=2
	s_bcnt1_i32_b64 s40, s[58:59]
	v_mov_b32_e32 v5, s40
	global_atomic_add v5, v29, v5, s[24:25] offset:512 glc
.LBB2_297:                              ;   in Loop: Header=BB2_161 Depth=2
	s_or_b64 exec, exec, s[56:57]
	s_waitcnt vmcnt(0)
	v_readfirstlane_b32 s40, v5
	v_add_u32_e32 v43, s40, v4
	v_cmp_lt_i32_e32 vcc, v43, v39
	s_mov_b64 s[58:59], 0
                                        ; implicit-def: $vgpr41
                                        ; implicit-def: $vgpr4_vgpr5
	s_and_saveexec_b64 s[56:57], vcc
	s_cbranch_execz .LBB2_311
; %bb.298:                              ;   in Loop: Header=BB2_161 Depth=2
	v_xad_u32 v4, v43, -1, s71
	v_ashrrev_i32_e32 v5, 31, v4
	v_lshlrev_b64 v[46:47], 2, v[4:5]
	v_mov_b32_e32 v41, s61
	v_add_co_u32_e32 v46, vcc, s60, v46
	v_addc_co_u32_e32 v47, vcc, v41, v47, vcc
	s_andn2_b64 vcc, exec, s[26:27]
	global_store_dword v[46:47], v6, off
	s_cbranch_vccnz .LBB2_308
; %bb.299:                              ;   in Loop: Header=BB2_161 Depth=2
	v_ashrrev_i32_e32 v45, 31, v44
	v_lshlrev_b64 v[46:47], 2, v[44:45]
	v_mov_b32_e32 v41, s65
	v_add_co_u32_e32 v46, vcc, s64, v46
	v_addc_co_u32_e32 v47, vcc, v41, v47, vcc
	global_load_dword v41, v[46:47], off
	s_andn2_b64 vcc, exec, s[58:59]
	s_cbranch_vccz .LBB2_309
	s_branch .LBB2_310
.LBB2_300:                              ;   in Loop: Header=BB2_161 Depth=2
	s_andn2_saveexec_b64 s[52:53], s[52:53]
	s_cbranch_execz .LBB2_313
.LBB2_301:                              ;   in Loop: Header=BB2_161 Depth=2
	s_mov_b64 s[58:59], exec
	v_mbcnt_lo_u32_b32 v4, s58, 0
	v_mbcnt_hi_u32_b32 v4, s59, v4
	v_cmp_eq_u32_e32 vcc, 0, v4
                                        ; implicit-def: $vgpr5
	s_and_saveexec_b64 s[56:57], vcc
	s_cbranch_execz .LBB2_303
; %bb.302:                              ;   in Loop: Header=BB2_161 Depth=2
	s_bcnt1_i32_b64 s40, s[58:59]
	v_mov_b32_e32 v5, s40
	global_atomic_add v5, v29, v5, s[24:25] offset:384 glc
.LBB2_303:                              ;   in Loop: Header=BB2_161 Depth=2
	s_or_b64 exec, exec, s[56:57]
	s_waitcnt vmcnt(0)
	v_readfirstlane_b32 s40, v5
	v_add_u32_e32 v4, s40, v4
	v_ashrrev_i32_e32 v5, 31, v4
	v_lshlrev_b64 v[46:47], 2, v[4:5]
	v_mov_b32_e32 v41, s61
	v_add_co_u32_e32 v46, vcc, s60, v46
	v_addc_co_u32_e32 v47, vcc, v41, v47, vcc
	s_andn2_b64 vcc, exec, s[26:27]
	global_store_dword v[46:47], v6, off
	s_cbranch_vccnz .LBB2_305
; %bb.304:                              ;   in Loop: Header=BB2_161 Depth=2
	v_ashrrev_i32_e32 v45, 31, v44
	v_lshlrev_b64 v[46:47], 2, v[44:45]
	v_mov_b32_e32 v6, s65
	v_add_co_u32_e32 v46, vcc, s64, v46
	v_addc_co_u32_e32 v47, vcc, v6, v47, vcc
	global_load_dword v41, v[46:47], off
	s_cbranch_execz .LBB2_306
	s_branch .LBB2_307
.LBB2_305:                              ;   in Loop: Header=BB2_161 Depth=2
                                        ; implicit-def: $vgpr41
.LBB2_306:                              ;   in Loop: Header=BB2_161 Depth=2
	s_waitcnt vmcnt(0)
	v_add_u32_e32 v41, s20, v35
.LBB2_307:                              ;   in Loop: Header=BB2_161 Depth=2
	s_or_b64 s[54:55], s[54:55], exec
	s_or_b64 exec, exec, s[52:53]
	s_and_saveexec_b64 s[52:53], s[54:55]
	s_cbranch_execnz .LBB2_314
	s_branch .LBB2_315
.LBB2_308:                              ;   in Loop: Header=BB2_161 Depth=2
                                        ; implicit-def: $vgpr41
.LBB2_309:                              ;   in Loop: Header=BB2_161 Depth=2
	s_waitcnt vmcnt(0)
	v_add_u32_e32 v41, s20, v35
.LBB2_310:                              ;   in Loop: Header=BB2_161 Depth=2
	s_mov_b64 s[58:59], exec
.LBB2_311:                              ;   in Loop: Header=BB2_161 Depth=2
	s_or_b64 exec, exec, s[56:57]
	s_and_b64 s[56:57], s[58:59], exec
.LBB2_312:                              ;   in Loop: Header=BB2_161 Depth=2
	s_or_b64 exec, exec, s[54:55]
	s_and_b64 s[54:55], s[56:57], exec
                                        ; implicit-def: $vgpr35
	s_andn2_saveexec_b64 s[52:53], s[52:53]
	s_cbranch_execnz .LBB2_301
.LBB2_313:                              ;   in Loop: Header=BB2_161 Depth=2
	s_or_b64 exec, exec, s[52:53]
	s_and_saveexec_b64 s[52:53], s[54:55]
	s_cbranch_execz .LBB2_315
.LBB2_314:                              ;   in Loop: Header=BB2_161 Depth=2
	v_lshlrev_b64 v[4:5], 2, v[4:5]
	v_mov_b32_e32 v6, s33
	v_add_co_u32_e32 v4, vcc, s21, v4
	v_addc_co_u32_e32 v5, vcc, v6, v5, vcc
	s_waitcnt vmcnt(0)
	global_store_dword v[4:5], v41, off
.LBB2_315:                              ;   in Loop: Header=BB2_161 Depth=2
	s_or_b64 exec, exec, s[52:53]
	v_cmp_gt_i32_e32 vcc, 0, v7
	v_cndmask_b32_e64 v4, v57, 0, vcc
	v_xor_b32_e32 v4, v4, v7
	v_add_u32_e32 v35, 3, v44
	v_cmp_ge_u32_e32 vcc, v4, v38
	s_mov_b64 s[54:55], 0
                                        ; implicit-def: $vgpr41
                                        ; implicit-def: $vgpr46_vgpr47
	s_and_saveexec_b64 s[52:53], vcc
	s_xor_b64 s[52:53], exec, s[52:53]
	s_cbranch_execz .LBB2_322
; %bb.316:                              ;   in Loop: Header=BB2_161 Depth=2
	v_cmp_eq_u32_e32 vcc, v4, v38
	s_mov_b64 s[56:57], 0
                                        ; implicit-def: $vgpr41
                                        ; implicit-def: $vgpr46_vgpr47
	s_and_saveexec_b64 s[54:55], vcc
	s_cbranch_execz .LBB2_334
; %bb.317:                              ;   in Loop: Header=BB2_161 Depth=2
	s_mov_b64 s[58:59], exec
	v_mbcnt_lo_u32_b32 v4, s58, 0
	v_mbcnt_hi_u32_b32 v4, s59, v4
	v_cmp_eq_u32_e32 vcc, 0, v4
                                        ; implicit-def: $vgpr5
	s_and_saveexec_b64 s[56:57], vcc
	s_cbranch_execz .LBB2_319
; %bb.318:                              ;   in Loop: Header=BB2_161 Depth=2
	s_bcnt1_i32_b64 s40, s[58:59]
	v_mov_b32_e32 v5, s40
	global_atomic_add v5, v29, v5, s[24:25] offset:512 glc
.LBB2_319:                              ;   in Loop: Header=BB2_161 Depth=2
	s_or_b64 exec, exec, s[56:57]
	s_waitcnt vmcnt(0)
	v_readfirstlane_b32 s40, v5
	v_add_u32_e32 v4, s40, v4
	v_cmp_lt_i32_e32 vcc, v4, v39
	s_mov_b64 s[58:59], 0
                                        ; implicit-def: $vgpr41
                                        ; implicit-def: $vgpr46_vgpr47
	s_and_saveexec_b64 s[56:57], vcc
	s_cbranch_execz .LBB2_333
; %bb.320:                              ;   in Loop: Header=BB2_161 Depth=2
	v_xad_u32 v46, v4, -1, s71
	v_ashrrev_i32_e32 v47, 31, v46
	v_lshlrev_b64 v[4:5], 2, v[46:47]
	v_mov_b32_e32 v6, s61
	v_add_co_u32_e32 v4, vcc, s60, v4
	v_addc_co_u32_e32 v5, vcc, v6, v5, vcc
	s_andn2_b64 vcc, exec, s[26:27]
	global_store_dword v[4:5], v7, off
	s_cbranch_vccnz .LBB2_330
; %bb.321:                              ;   in Loop: Header=BB2_161 Depth=2
	v_ashrrev_i32_e32 v45, 31, v44
	v_lshlrev_b64 v[4:5], 2, v[44:45]
	v_mov_b32_e32 v6, s67
	v_add_co_u32_e32 v4, vcc, s66, v4
	v_addc_co_u32_e32 v5, vcc, v6, v5, vcc
	global_load_dword v41, v[4:5], off
	s_andn2_b64 vcc, exec, s[58:59]
	s_cbranch_vccz .LBB2_331
	s_branch .LBB2_332
.LBB2_322:                              ;   in Loop: Header=BB2_161 Depth=2
	s_andn2_saveexec_b64 s[52:53], s[52:53]
	s_cbranch_execz .LBB2_335
.LBB2_323:                              ;   in Loop: Header=BB2_161 Depth=2
	s_mov_b64 s[58:59], exec
	v_mbcnt_lo_u32_b32 v4, s58, 0
	v_mbcnt_hi_u32_b32 v4, s59, v4
	v_cmp_eq_u32_e32 vcc, 0, v4
                                        ; implicit-def: $vgpr5
	s_and_saveexec_b64 s[56:57], vcc
	s_cbranch_execz .LBB2_325
; %bb.324:                              ;   in Loop: Header=BB2_161 Depth=2
	s_bcnt1_i32_b64 s40, s[58:59]
	v_mov_b32_e32 v5, s40
	global_atomic_add v5, v29, v5, s[24:25] offset:384 glc
.LBB2_325:                              ;   in Loop: Header=BB2_161 Depth=2
	s_or_b64 exec, exec, s[56:57]
	s_waitcnt vmcnt(0)
	v_readfirstlane_b32 s40, v5
	v_add_u32_e32 v46, s40, v4
	v_ashrrev_i32_e32 v47, 31, v46
	v_lshlrev_b64 v[4:5], 2, v[46:47]
	v_mov_b32_e32 v6, s61
	v_add_co_u32_e32 v4, vcc, s60, v4
	v_addc_co_u32_e32 v5, vcc, v6, v5, vcc
	s_andn2_b64 vcc, exec, s[26:27]
	global_store_dword v[4:5], v7, off
	s_cbranch_vccnz .LBB2_327
; %bb.326:                              ;   in Loop: Header=BB2_161 Depth=2
	v_ashrrev_i32_e32 v45, 31, v44
	v_lshlrev_b64 v[4:5], 2, v[44:45]
	v_mov_b32_e32 v6, s67
	v_add_co_u32_e32 v4, vcc, s66, v4
	v_addc_co_u32_e32 v5, vcc, v6, v5, vcc
	global_load_dword v41, v[4:5], off
	s_cbranch_execz .LBB2_328
	s_branch .LBB2_329
.LBB2_327:                              ;   in Loop: Header=BB2_161 Depth=2
                                        ; implicit-def: $vgpr41
.LBB2_328:                              ;   in Loop: Header=BB2_161 Depth=2
	s_waitcnt vmcnt(0)
	v_add_u32_e32 v41, s20, v35
.LBB2_329:                              ;   in Loop: Header=BB2_161 Depth=2
	s_or_b64 s[54:55], s[54:55], exec
	s_or_b64 exec, exec, s[52:53]
	s_and_saveexec_b64 s[52:53], s[54:55]
	s_cbranch_execnz .LBB2_336
	s_branch .LBB2_337
.LBB2_330:                              ;   in Loop: Header=BB2_161 Depth=2
                                        ; implicit-def: $vgpr41
.LBB2_331:                              ;   in Loop: Header=BB2_161 Depth=2
	s_waitcnt vmcnt(0)
	v_add_u32_e32 v41, s20, v35
.LBB2_332:                              ;   in Loop: Header=BB2_161 Depth=2
	s_mov_b64 s[58:59], exec
.LBB2_333:                              ;   in Loop: Header=BB2_161 Depth=2
	s_or_b64 exec, exec, s[56:57]
	s_and_b64 s[56:57], s[58:59], exec
.LBB2_334:                              ;   in Loop: Header=BB2_161 Depth=2
	s_or_b64 exec, exec, s[54:55]
	s_and_b64 s[54:55], s[56:57], exec
                                        ; implicit-def: $vgpr35
                                        ; implicit-def: $vgpr44
                                        ; implicit-def: $vgpr4_vgpr5_vgpr6_vgpr7
	s_andn2_saveexec_b64 s[52:53], s[52:53]
	s_cbranch_execnz .LBB2_323
.LBB2_335:                              ;   in Loop: Header=BB2_161 Depth=2
	s_or_b64 exec, exec, s[52:53]
	s_and_saveexec_b64 s[52:53], s[54:55]
	s_cbranch_execz .LBB2_337
.LBB2_336:                              ;   in Loop: Header=BB2_161 Depth=2
	v_lshlrev_b64 v[4:5], 2, v[46:47]
	v_mov_b32_e32 v6, s33
	v_add_co_u32_e32 v4, vcc, s21, v4
	v_addc_co_u32_e32 v5, vcc, v6, v5, vcc
	s_waitcnt vmcnt(0)
	global_store_dword v[4:5], v41, off
.LBB2_337:                              ;   in Loop: Header=BB2_161 Depth=2
	s_or_b64 exec, exec, s[52:53]
	v_cmp_gt_i32_e32 vcc, 0, v8
	v_cndmask_b32_e64 v5, v57, 0, vcc
	v_add_u32_e32 v4, s28, v28
	v_xor_b32_e32 v28, v5, v8
	v_lshl_add_u32 v4, v4, 2, s34
	v_cmp_ge_u32_e32 vcc, v28, v38
	s_mov_b64 s[54:55], 0
                                        ; implicit-def: $vgpr5
                                        ; implicit-def: $vgpr6_vgpr7
	s_and_saveexec_b64 s[52:53], vcc
	s_xor_b64 s[52:53], exec, s[52:53]
	s_cbranch_execz .LBB2_344
; %bb.338:                              ;   in Loop: Header=BB2_161 Depth=2
	v_cmp_eq_u32_e32 vcc, v28, v38
	s_mov_b64 s[56:57], 0
                                        ; implicit-def: $vgpr5
                                        ; implicit-def: $vgpr6_vgpr7
	s_and_saveexec_b64 s[54:55], vcc
	s_cbranch_execz .LBB2_356
; %bb.339:                              ;   in Loop: Header=BB2_161 Depth=2
	s_mov_b64 s[58:59], exec
	v_mbcnt_lo_u32_b32 v5, s58, 0
	v_mbcnt_hi_u32_b32 v5, s59, v5
	v_cmp_eq_u32_e32 vcc, 0, v5
                                        ; implicit-def: $vgpr6
	s_and_saveexec_b64 s[56:57], vcc
	s_cbranch_execz .LBB2_341
; %bb.340:                              ;   in Loop: Header=BB2_161 Depth=2
	s_bcnt1_i32_b64 s40, s[58:59]
	v_mov_b32_e32 v6, s40
	global_atomic_add v6, v29, v6, s[24:25] offset:512 glc
.LBB2_341:                              ;   in Loop: Header=BB2_161 Depth=2
	s_or_b64 exec, exec, s[56:57]
	s_waitcnt vmcnt(0)
	v_readfirstlane_b32 s40, v6
	v_add_u32_e32 v28, s40, v5
	v_cmp_lt_i32_e32 vcc, v28, v39
	s_mov_b64 s[58:59], 0
                                        ; implicit-def: $vgpr5
                                        ; implicit-def: $vgpr6_vgpr7
	s_and_saveexec_b64 s[56:57], vcc
	s_xor_b64 s[56:57], exec, s[56:57]
	s_cbranch_execz .LBB2_355
; %bb.342:                              ;   in Loop: Header=BB2_161 Depth=2
	v_xad_u32 v6, v28, -1, s71
	v_ashrrev_i32_e32 v7, 31, v6
	v_lshlrev_b64 v[44:45], 2, v[6:7]
	v_mov_b32_e32 v5, s61
	v_add_co_u32_e32 v44, vcc, s60, v44
	v_addc_co_u32_e32 v45, vcc, v5, v45, vcc
	s_andn2_b64 vcc, exec, s[26:27]
	global_store_dword v[44:45], v8, off
	s_cbranch_vccnz .LBB2_352
; %bb.343:                              ;   in Loop: Header=BB2_161 Depth=2
	v_ashrrev_i32_e32 v5, 31, v4
	v_lshlrev_b64 v[44:45], 2, v[4:5]
	v_mov_b32_e32 v5, s23
	v_add_co_u32_e32 v44, vcc, s22, v44
	v_addc_co_u32_e32 v45, vcc, v5, v45, vcc
	global_load_dword v5, v[44:45], off
	s_andn2_b64 vcc, exec, s[58:59]
	s_cbranch_vccz .LBB2_353
	s_branch .LBB2_354
.LBB2_344:                              ;   in Loop: Header=BB2_161 Depth=2
	s_andn2_saveexec_b64 s[52:53], s[52:53]
	s_cbranch_execz .LBB2_357
.LBB2_345:                              ;   in Loop: Header=BB2_161 Depth=2
	s_mov_b64 s[58:59], exec
	s_waitcnt vmcnt(0)
	v_mbcnt_lo_u32_b32 v5, s58, 0
	v_mbcnt_hi_u32_b32 v5, s59, v5
	v_cmp_eq_u32_e32 vcc, 0, v5
                                        ; implicit-def: $vgpr6
	s_and_saveexec_b64 s[56:57], vcc
	s_cbranch_execz .LBB2_347
; %bb.346:                              ;   in Loop: Header=BB2_161 Depth=2
	s_bcnt1_i32_b64 s40, s[58:59]
	v_mov_b32_e32 v6, s40
	global_atomic_add v6, v29, v6, s[24:25] offset:384 glc
.LBB2_347:                              ;   in Loop: Header=BB2_161 Depth=2
	s_or_b64 exec, exec, s[56:57]
	s_waitcnt vmcnt(0)
	v_readfirstlane_b32 s40, v6
	v_add_u32_e32 v6, s40, v5
	v_ashrrev_i32_e32 v7, 31, v6
	v_lshlrev_b64 v[44:45], 2, v[6:7]
	v_mov_b32_e32 v5, s61
	v_add_co_u32_e32 v44, vcc, s60, v44
	v_addc_co_u32_e32 v45, vcc, v5, v45, vcc
	s_andn2_b64 vcc, exec, s[26:27]
	global_store_dword v[44:45], v8, off
	s_cbranch_vccnz .LBB2_349
; %bb.348:                              ;   in Loop: Header=BB2_161 Depth=2
	v_ashrrev_i32_e32 v5, 31, v4
	v_lshlrev_b64 v[44:45], 2, v[4:5]
	v_mov_b32_e32 v5, s23
	v_add_co_u32_e32 v44, vcc, s22, v44
	v_addc_co_u32_e32 v45, vcc, v5, v45, vcc
	global_load_dword v5, v[44:45], off
	s_cbranch_execz .LBB2_350
	s_branch .LBB2_351
.LBB2_349:                              ;   in Loop: Header=BB2_161 Depth=2
                                        ; implicit-def: $vgpr5
.LBB2_350:                              ;   in Loop: Header=BB2_161 Depth=2
	s_waitcnt vmcnt(0)
	v_add_u32_e32 v5, s20, v4
.LBB2_351:                              ;   in Loop: Header=BB2_161 Depth=2
	s_or_b64 s[54:55], s[54:55], exec
	s_or_b64 exec, exec, s[52:53]
	s_and_saveexec_b64 s[52:53], s[54:55]
	s_cbranch_execnz .LBB2_358
	s_branch .LBB2_359
.LBB2_352:                              ;   in Loop: Header=BB2_161 Depth=2
                                        ; implicit-def: $vgpr5
.LBB2_353:                              ;   in Loop: Header=BB2_161 Depth=2
	s_waitcnt vmcnt(0)
	v_add_u32_e32 v5, s20, v4
.LBB2_354:                              ;   in Loop: Header=BB2_161 Depth=2
	s_mov_b64 s[58:59], exec
.LBB2_355:                              ;   in Loop: Header=BB2_161 Depth=2
	s_or_b64 exec, exec, s[56:57]
	s_and_b64 s[56:57], s[58:59], exec
.LBB2_356:                              ;   in Loop: Header=BB2_161 Depth=2
	s_or_b64 exec, exec, s[54:55]
	s_and_b64 s[54:55], s[56:57], exec
	s_andn2_saveexec_b64 s[52:53], s[52:53]
	s_cbranch_execnz .LBB2_345
.LBB2_357:                              ;   in Loop: Header=BB2_161 Depth=2
	s_or_b64 exec, exec, s[52:53]
	s_and_saveexec_b64 s[52:53], s[54:55]
	s_cbranch_execz .LBB2_359
.LBB2_358:                              ;   in Loop: Header=BB2_161 Depth=2
	v_lshlrev_b64 v[6:7], 2, v[6:7]
	v_mov_b32_e32 v8, s33
	v_add_co_u32_e32 v6, vcc, s21, v6
	v_addc_co_u32_e32 v7, vcc, v8, v7, vcc
	s_waitcnt vmcnt(0)
	global_store_dword v[6:7], v5, off
.LBB2_359:                              ;   in Loop: Header=BB2_161 Depth=2
	s_or_b64 exec, exec, s[52:53]
	v_cmp_gt_i32_e32 vcc, 0, v9
	s_waitcnt vmcnt(0)
	v_cndmask_b32_e64 v5, v57, 0, vcc
	v_xor_b32_e32 v28, v5, v9
	v_add_u32_e32 v8, 1, v4
	v_cmp_ge_u32_e32 vcc, v28, v38
	s_mov_b64 s[54:55], 0
                                        ; implicit-def: $vgpr5
                                        ; implicit-def: $vgpr6_vgpr7
	s_and_saveexec_b64 s[52:53], vcc
	s_xor_b64 s[52:53], exec, s[52:53]
	s_cbranch_execz .LBB2_366
; %bb.360:                              ;   in Loop: Header=BB2_161 Depth=2
	v_cmp_eq_u32_e32 vcc, v28, v38
	s_mov_b64 s[56:57], 0
                                        ; implicit-def: $vgpr5
                                        ; implicit-def: $vgpr6_vgpr7
	s_and_saveexec_b64 s[54:55], vcc
	s_cbranch_execz .LBB2_378
; %bb.361:                              ;   in Loop: Header=BB2_161 Depth=2
	s_mov_b64 s[58:59], exec
	v_mbcnt_lo_u32_b32 v5, s58, 0
	v_mbcnt_hi_u32_b32 v5, s59, v5
	v_cmp_eq_u32_e32 vcc, 0, v5
                                        ; implicit-def: $vgpr6
	s_and_saveexec_b64 s[56:57], vcc
	s_cbranch_execz .LBB2_363
; %bb.362:                              ;   in Loop: Header=BB2_161 Depth=2
	s_bcnt1_i32_b64 s40, s[58:59]
	v_mov_b32_e32 v6, s40
	global_atomic_add v6, v29, v6, s[24:25] offset:512 glc
.LBB2_363:                              ;   in Loop: Header=BB2_161 Depth=2
	s_or_b64 exec, exec, s[56:57]
	s_waitcnt vmcnt(0)
	v_readfirstlane_b32 s40, v6
	v_add_u32_e32 v28, s40, v5
	v_cmp_lt_i32_e32 vcc, v28, v39
	s_mov_b64 s[58:59], 0
                                        ; implicit-def: $vgpr5
                                        ; implicit-def: $vgpr6_vgpr7
	s_and_saveexec_b64 s[56:57], vcc
	s_cbranch_execz .LBB2_377
; %bb.364:                              ;   in Loop: Header=BB2_161 Depth=2
	v_xad_u32 v6, v28, -1, s71
	v_ashrrev_i32_e32 v7, 31, v6
	v_lshlrev_b64 v[44:45], 2, v[6:7]
	v_mov_b32_e32 v5, s61
	v_add_co_u32_e32 v44, vcc, s60, v44
	v_addc_co_u32_e32 v45, vcc, v5, v45, vcc
	s_andn2_b64 vcc, exec, s[26:27]
	global_store_dword v[44:45], v9, off
	s_cbranch_vccnz .LBB2_374
; %bb.365:                              ;   in Loop: Header=BB2_161 Depth=2
	v_ashrrev_i32_e32 v5, 31, v4
	v_lshlrev_b64 v[44:45], 2, v[4:5]
	v_mov_b32_e32 v5, s35
	v_add_co_u32_e32 v44, vcc, s29, v44
	v_addc_co_u32_e32 v45, vcc, v5, v45, vcc
	global_load_dword v5, v[44:45], off
	s_andn2_b64 vcc, exec, s[58:59]
	s_cbranch_vccz .LBB2_375
	s_branch .LBB2_376
.LBB2_366:                              ;   in Loop: Header=BB2_161 Depth=2
	s_andn2_saveexec_b64 s[52:53], s[52:53]
	s_cbranch_execz .LBB2_379
.LBB2_367:                              ;   in Loop: Header=BB2_161 Depth=2
	s_mov_b64 s[58:59], exec
	s_waitcnt vmcnt(0)
	v_mbcnt_lo_u32_b32 v5, s58, 0
	v_mbcnt_hi_u32_b32 v5, s59, v5
	v_cmp_eq_u32_e32 vcc, 0, v5
                                        ; implicit-def: $vgpr6
	s_and_saveexec_b64 s[56:57], vcc
	s_cbranch_execz .LBB2_369
; %bb.368:                              ;   in Loop: Header=BB2_161 Depth=2
	s_bcnt1_i32_b64 s40, s[58:59]
	v_mov_b32_e32 v6, s40
	global_atomic_add v6, v29, v6, s[24:25] offset:384 glc
.LBB2_369:                              ;   in Loop: Header=BB2_161 Depth=2
	s_or_b64 exec, exec, s[56:57]
	s_waitcnt vmcnt(0)
	v_readfirstlane_b32 s40, v6
	v_add_u32_e32 v6, s40, v5
	v_ashrrev_i32_e32 v7, 31, v6
	v_lshlrev_b64 v[44:45], 2, v[6:7]
	v_mov_b32_e32 v5, s61
	v_add_co_u32_e32 v44, vcc, s60, v44
	v_addc_co_u32_e32 v45, vcc, v5, v45, vcc
	s_andn2_b64 vcc, exec, s[26:27]
	global_store_dword v[44:45], v9, off
	s_cbranch_vccnz .LBB2_371
; %bb.370:                              ;   in Loop: Header=BB2_161 Depth=2
	v_ashrrev_i32_e32 v5, 31, v4
	v_lshlrev_b64 v[44:45], 2, v[4:5]
	v_mov_b32_e32 v5, s35
	v_add_co_u32_e32 v44, vcc, s29, v44
	v_addc_co_u32_e32 v45, vcc, v5, v45, vcc
	global_load_dword v5, v[44:45], off
	s_cbranch_execz .LBB2_372
	s_branch .LBB2_373
.LBB2_371:                              ;   in Loop: Header=BB2_161 Depth=2
                                        ; implicit-def: $vgpr5
.LBB2_372:                              ;   in Loop: Header=BB2_161 Depth=2
	s_waitcnt vmcnt(0)
	v_add_u32_e32 v5, s20, v8
.LBB2_373:                              ;   in Loop: Header=BB2_161 Depth=2
	s_or_b64 s[54:55], s[54:55], exec
	s_or_b64 exec, exec, s[52:53]
	s_and_saveexec_b64 s[52:53], s[54:55]
	s_cbranch_execnz .LBB2_380
	s_branch .LBB2_381
.LBB2_374:                              ;   in Loop: Header=BB2_161 Depth=2
                                        ; implicit-def: $vgpr5
.LBB2_375:                              ;   in Loop: Header=BB2_161 Depth=2
	s_waitcnt vmcnt(0)
	v_add_u32_e32 v5, s20, v8
.LBB2_376:                              ;   in Loop: Header=BB2_161 Depth=2
	s_mov_b64 s[58:59], exec
.LBB2_377:                              ;   in Loop: Header=BB2_161 Depth=2
	s_or_b64 exec, exec, s[56:57]
	s_and_b64 s[56:57], s[58:59], exec
.LBB2_378:                              ;   in Loop: Header=BB2_161 Depth=2
	s_or_b64 exec, exec, s[54:55]
	s_and_b64 s[54:55], s[56:57], exec
                                        ; implicit-def: $vgpr8
	s_andn2_saveexec_b64 s[52:53], s[52:53]
	s_cbranch_execnz .LBB2_367
.LBB2_379:                              ;   in Loop: Header=BB2_161 Depth=2
	s_or_b64 exec, exec, s[52:53]
	s_and_saveexec_b64 s[52:53], s[54:55]
	s_cbranch_execz .LBB2_381
.LBB2_380:                              ;   in Loop: Header=BB2_161 Depth=2
	v_lshlrev_b64 v[6:7], 2, v[6:7]
	v_mov_b32_e32 v8, s33
	v_add_co_u32_e32 v6, vcc, s21, v6
	v_addc_co_u32_e32 v7, vcc, v8, v7, vcc
	s_waitcnt vmcnt(0)
	global_store_dword v[6:7], v5, off
.LBB2_381:                              ;   in Loop: Header=BB2_161 Depth=2
	s_or_b64 exec, exec, s[52:53]
	v_cmp_gt_i32_e32 vcc, 0, v10
	s_waitcnt vmcnt(0)
	v_cndmask_b32_e64 v5, v57, 0, vcc
	v_xor_b32_e32 v9, v5, v10
	v_add_u32_e32 v8, 2, v4
	v_cmp_ge_u32_e32 vcc, v9, v38
	s_mov_b64 s[54:55], 0
                                        ; implicit-def: $vgpr5
                                        ; implicit-def: $vgpr6_vgpr7
	s_and_saveexec_b64 s[52:53], vcc
	s_xor_b64 s[52:53], exec, s[52:53]
	s_cbranch_execz .LBB2_388
; %bb.382:                              ;   in Loop: Header=BB2_161 Depth=2
	v_cmp_eq_u32_e32 vcc, v9, v38
	s_mov_b64 s[56:57], 0
                                        ; implicit-def: $vgpr5
                                        ; implicit-def: $vgpr6_vgpr7
	s_and_saveexec_b64 s[54:55], vcc
	s_cbranch_execz .LBB2_400
; %bb.383:                              ;   in Loop: Header=BB2_161 Depth=2
	s_mov_b64 s[58:59], exec
	v_mbcnt_lo_u32_b32 v5, s58, 0
	v_mbcnt_hi_u32_b32 v5, s59, v5
	v_cmp_eq_u32_e32 vcc, 0, v5
                                        ; implicit-def: $vgpr6
	s_and_saveexec_b64 s[56:57], vcc
	s_cbranch_execz .LBB2_385
; %bb.384:                              ;   in Loop: Header=BB2_161 Depth=2
	s_bcnt1_i32_b64 s40, s[58:59]
	v_mov_b32_e32 v6, s40
	global_atomic_add v6, v29, v6, s[24:25] offset:512 glc
.LBB2_385:                              ;   in Loop: Header=BB2_161 Depth=2
	s_or_b64 exec, exec, s[56:57]
	s_waitcnt vmcnt(0)
	v_readfirstlane_b32 s40, v6
	v_add_u32_e32 v9, s40, v5
	v_cmp_lt_i32_e32 vcc, v9, v39
	s_mov_b64 s[58:59], 0
                                        ; implicit-def: $vgpr5
                                        ; implicit-def: $vgpr6_vgpr7
	s_and_saveexec_b64 s[56:57], vcc
	s_cbranch_execz .LBB2_399
; %bb.386:                              ;   in Loop: Header=BB2_161 Depth=2
	v_xad_u32 v6, v9, -1, s71
	v_ashrrev_i32_e32 v7, 31, v6
	v_lshlrev_b64 v[44:45], 2, v[6:7]
	v_mov_b32_e32 v5, s61
	v_add_co_u32_e32 v44, vcc, s60, v44
	v_addc_co_u32_e32 v45, vcc, v5, v45, vcc
	s_andn2_b64 vcc, exec, s[26:27]
	global_store_dword v[44:45], v10, off
	s_cbranch_vccnz .LBB2_396
; %bb.387:                              ;   in Loop: Header=BB2_161 Depth=2
	v_ashrrev_i32_e32 v5, 31, v4
	v_lshlrev_b64 v[44:45], 2, v[4:5]
	v_mov_b32_e32 v5, s65
	v_add_co_u32_e32 v44, vcc, s64, v44
	v_addc_co_u32_e32 v45, vcc, v5, v45, vcc
	global_load_dword v5, v[44:45], off
	s_andn2_b64 vcc, exec, s[58:59]
	s_cbranch_vccz .LBB2_397
	s_branch .LBB2_398
.LBB2_388:                              ;   in Loop: Header=BB2_161 Depth=2
	s_andn2_saveexec_b64 s[52:53], s[52:53]
	s_cbranch_execz .LBB2_401
.LBB2_389:                              ;   in Loop: Header=BB2_161 Depth=2
	s_mov_b64 s[58:59], exec
	s_waitcnt vmcnt(0)
	v_mbcnt_lo_u32_b32 v5, s58, 0
	v_mbcnt_hi_u32_b32 v5, s59, v5
	v_cmp_eq_u32_e32 vcc, 0, v5
                                        ; implicit-def: $vgpr6
	s_and_saveexec_b64 s[56:57], vcc
	s_cbranch_execz .LBB2_391
; %bb.390:                              ;   in Loop: Header=BB2_161 Depth=2
	s_bcnt1_i32_b64 s40, s[58:59]
	v_mov_b32_e32 v6, s40
	global_atomic_add v6, v29, v6, s[24:25] offset:384 glc
.LBB2_391:                              ;   in Loop: Header=BB2_161 Depth=2
	s_or_b64 exec, exec, s[56:57]
	s_waitcnt vmcnt(0)
	v_readfirstlane_b32 s40, v6
	v_add_u32_e32 v6, s40, v5
	v_ashrrev_i32_e32 v7, 31, v6
	v_lshlrev_b64 v[44:45], 2, v[6:7]
	v_mov_b32_e32 v5, s61
	v_add_co_u32_e32 v44, vcc, s60, v44
	v_addc_co_u32_e32 v45, vcc, v5, v45, vcc
	s_andn2_b64 vcc, exec, s[26:27]
	global_store_dword v[44:45], v10, off
	s_cbranch_vccnz .LBB2_393
; %bb.392:                              ;   in Loop: Header=BB2_161 Depth=2
	v_ashrrev_i32_e32 v5, 31, v4
	v_lshlrev_b64 v[44:45], 2, v[4:5]
	v_mov_b32_e32 v5, s65
	v_add_co_u32_e32 v44, vcc, s64, v44
	v_addc_co_u32_e32 v45, vcc, v5, v45, vcc
	global_load_dword v5, v[44:45], off
	s_cbranch_execz .LBB2_394
	s_branch .LBB2_395
.LBB2_393:                              ;   in Loop: Header=BB2_161 Depth=2
                                        ; implicit-def: $vgpr5
.LBB2_394:                              ;   in Loop: Header=BB2_161 Depth=2
	s_waitcnt vmcnt(0)
	v_add_u32_e32 v5, s20, v8
.LBB2_395:                              ;   in Loop: Header=BB2_161 Depth=2
	s_or_b64 s[54:55], s[54:55], exec
	s_or_b64 exec, exec, s[52:53]
	s_and_saveexec_b64 s[52:53], s[54:55]
	s_cbranch_execnz .LBB2_402
	s_branch .LBB2_403
.LBB2_396:                              ;   in Loop: Header=BB2_161 Depth=2
                                        ; implicit-def: $vgpr5
.LBB2_397:                              ;   in Loop: Header=BB2_161 Depth=2
	s_waitcnt vmcnt(0)
	v_add_u32_e32 v5, s20, v8
.LBB2_398:                              ;   in Loop: Header=BB2_161 Depth=2
	s_mov_b64 s[58:59], exec
.LBB2_399:                              ;   in Loop: Header=BB2_161 Depth=2
	s_or_b64 exec, exec, s[56:57]
	s_and_b64 s[56:57], s[58:59], exec
.LBB2_400:                              ;   in Loop: Header=BB2_161 Depth=2
	s_or_b64 exec, exec, s[54:55]
	s_and_b64 s[54:55], s[56:57], exec
                                        ; implicit-def: $vgpr8
	s_andn2_saveexec_b64 s[52:53], s[52:53]
	s_cbranch_execnz .LBB2_389
.LBB2_401:                              ;   in Loop: Header=BB2_161 Depth=2
	s_or_b64 exec, exec, s[52:53]
	s_and_saveexec_b64 s[52:53], s[54:55]
	s_cbranch_execz .LBB2_403
.LBB2_402:                              ;   in Loop: Header=BB2_161 Depth=2
	v_lshlrev_b64 v[6:7], 2, v[6:7]
	v_mov_b32_e32 v8, s33
	v_add_co_u32_e32 v6, vcc, s21, v6
	v_addc_co_u32_e32 v7, vcc, v8, v7, vcc
	s_waitcnt vmcnt(0)
	global_store_dword v[6:7], v5, off
.LBB2_403:                              ;   in Loop: Header=BB2_161 Depth=2
	s_or_b64 exec, exec, s[52:53]
	v_cmp_gt_i32_e32 vcc, 0, v11
	s_waitcnt vmcnt(0)
	v_cndmask_b32_e64 v5, v57, 0, vcc
	v_xor_b32_e32 v8, v5, v11
	v_add_u32_e32 v28, 3, v4
	v_cmp_ge_u32_e32 vcc, v8, v38
	s_mov_b64 s[54:55], 0
                                        ; implicit-def: $vgpr5
                                        ; implicit-def: $vgpr6_vgpr7
	s_and_saveexec_b64 s[52:53], vcc
	s_xor_b64 s[52:53], exec, s[52:53]
	s_cbranch_execz .LBB2_410
; %bb.404:                              ;   in Loop: Header=BB2_161 Depth=2
	v_cmp_eq_u32_e32 vcc, v8, v38
	s_mov_b64 s[56:57], 0
                                        ; implicit-def: $vgpr5
                                        ; implicit-def: $vgpr6_vgpr7
	s_and_saveexec_b64 s[54:55], vcc
	s_cbranch_execz .LBB2_422
; %bb.405:                              ;   in Loop: Header=BB2_161 Depth=2
	s_mov_b64 s[58:59], exec
	v_mbcnt_lo_u32_b32 v5, s58, 0
	v_mbcnt_hi_u32_b32 v5, s59, v5
	v_cmp_eq_u32_e32 vcc, 0, v5
                                        ; implicit-def: $vgpr6
	s_and_saveexec_b64 s[56:57], vcc
	s_cbranch_execz .LBB2_407
; %bb.406:                              ;   in Loop: Header=BB2_161 Depth=2
	s_bcnt1_i32_b64 s40, s[58:59]
	v_mov_b32_e32 v6, s40
	global_atomic_add v6, v29, v6, s[24:25] offset:512 glc
.LBB2_407:                              ;   in Loop: Header=BB2_161 Depth=2
	s_or_b64 exec, exec, s[56:57]
	s_waitcnt vmcnt(0)
	v_readfirstlane_b32 s40, v6
	v_add_u32_e32 v8, s40, v5
	v_cmp_lt_i32_e32 vcc, v8, v39
	s_mov_b64 s[58:59], 0
                                        ; implicit-def: $vgpr5
                                        ; implicit-def: $vgpr6_vgpr7
	s_and_saveexec_b64 s[56:57], vcc
	s_cbranch_execz .LBB2_421
; %bb.408:                              ;   in Loop: Header=BB2_161 Depth=2
	v_xad_u32 v6, v8, -1, s71
	v_ashrrev_i32_e32 v7, 31, v6
	v_lshlrev_b64 v[8:9], 2, v[6:7]
	v_mov_b32_e32 v5, s61
	v_add_co_u32_e32 v8, vcc, s60, v8
	v_addc_co_u32_e32 v9, vcc, v5, v9, vcc
	s_andn2_b64 vcc, exec, s[26:27]
	global_store_dword v[8:9], v11, off
	s_cbranch_vccnz .LBB2_418
; %bb.409:                              ;   in Loop: Header=BB2_161 Depth=2
	v_ashrrev_i32_e32 v5, 31, v4
	v_lshlrev_b64 v[4:5], 2, v[4:5]
	v_mov_b32_e32 v8, s67
	v_add_co_u32_e32 v4, vcc, s66, v4
	v_addc_co_u32_e32 v5, vcc, v8, v5, vcc
	global_load_dword v5, v[4:5], off
	s_andn2_b64 vcc, exec, s[58:59]
	s_cbranch_vccz .LBB2_419
	s_branch .LBB2_420
.LBB2_410:                              ;   in Loop: Header=BB2_161 Depth=2
	s_andn2_saveexec_b64 s[52:53], s[52:53]
	s_cbranch_execz .LBB2_423
.LBB2_411:                              ;   in Loop: Header=BB2_161 Depth=2
	s_mov_b64 s[58:59], exec
	s_waitcnt vmcnt(0)
	v_mbcnt_lo_u32_b32 v5, s58, 0
	v_mbcnt_hi_u32_b32 v5, s59, v5
	v_cmp_eq_u32_e32 vcc, 0, v5
                                        ; implicit-def: $vgpr6
	s_and_saveexec_b64 s[56:57], vcc
	s_cbranch_execz .LBB2_413
; %bb.412:                              ;   in Loop: Header=BB2_161 Depth=2
	s_bcnt1_i32_b64 s40, s[58:59]
	v_mov_b32_e32 v6, s40
	global_atomic_add v6, v29, v6, s[24:25] offset:384 glc
.LBB2_413:                              ;   in Loop: Header=BB2_161 Depth=2
	s_or_b64 exec, exec, s[56:57]
	s_waitcnt vmcnt(0)
	v_readfirstlane_b32 s40, v6
	v_add_u32_e32 v6, s40, v5
	v_ashrrev_i32_e32 v7, 31, v6
	v_lshlrev_b64 v[8:9], 2, v[6:7]
	v_mov_b32_e32 v5, s61
	v_add_co_u32_e32 v8, vcc, s60, v8
	v_addc_co_u32_e32 v9, vcc, v5, v9, vcc
	s_andn2_b64 vcc, exec, s[26:27]
	global_store_dword v[8:9], v11, off
	s_cbranch_vccnz .LBB2_415
; %bb.414:                              ;   in Loop: Header=BB2_161 Depth=2
	v_ashrrev_i32_e32 v5, 31, v4
	v_lshlrev_b64 v[4:5], 2, v[4:5]
	v_mov_b32_e32 v8, s67
	v_add_co_u32_e32 v4, vcc, s66, v4
	v_addc_co_u32_e32 v5, vcc, v8, v5, vcc
	global_load_dword v5, v[4:5], off
	s_cbranch_execz .LBB2_416
	s_branch .LBB2_417
.LBB2_415:                              ;   in Loop: Header=BB2_161 Depth=2
                                        ; implicit-def: $vgpr5
.LBB2_416:                              ;   in Loop: Header=BB2_161 Depth=2
	s_waitcnt vmcnt(0)
	v_add_u32_e32 v5, s20, v28
.LBB2_417:                              ;   in Loop: Header=BB2_161 Depth=2
	s_or_b64 s[54:55], s[54:55], exec
	s_or_b64 exec, exec, s[52:53]
	s_and_saveexec_b64 s[52:53], s[54:55]
	s_cbranch_execnz .LBB2_424
	s_branch .LBB2_425
.LBB2_418:                              ;   in Loop: Header=BB2_161 Depth=2
                                        ; implicit-def: $vgpr5
.LBB2_419:                              ;   in Loop: Header=BB2_161 Depth=2
	s_waitcnt vmcnt(0)
	v_add_u32_e32 v5, s20, v28
.LBB2_420:                              ;   in Loop: Header=BB2_161 Depth=2
	s_mov_b64 s[58:59], exec
.LBB2_421:                              ;   in Loop: Header=BB2_161 Depth=2
	s_or_b64 exec, exec, s[56:57]
	s_and_b64 s[56:57], s[58:59], exec
.LBB2_422:                              ;   in Loop: Header=BB2_161 Depth=2
	s_or_b64 exec, exec, s[54:55]
	s_and_b64 s[54:55], s[56:57], exec
                                        ; implicit-def: $vgpr28
                                        ; implicit-def: $vgpr4
                                        ; implicit-def: $vgpr8_vgpr9_vgpr10_vgpr11
	s_andn2_saveexec_b64 s[52:53], s[52:53]
	s_cbranch_execnz .LBB2_411
.LBB2_423:                              ;   in Loop: Header=BB2_161 Depth=2
	s_or_b64 exec, exec, s[52:53]
	s_and_saveexec_b64 s[52:53], s[54:55]
	s_cbranch_execz .LBB2_425
.LBB2_424:                              ;   in Loop: Header=BB2_161 Depth=2
	v_lshlrev_b64 v[6:7], 2, v[6:7]
	v_mov_b32_e32 v4, s33
	v_add_co_u32_e32 v6, vcc, s21, v6
	v_addc_co_u32_e32 v7, vcc, v4, v7, vcc
	s_waitcnt vmcnt(0)
	global_store_dword v[6:7], v5, off
.LBB2_425:                              ;   in Loop: Header=BB2_161 Depth=2
	s_or_b64 exec, exec, s[52:53]
	v_cmp_gt_i32_e32 vcc, 0, v0
	s_waitcnt vmcnt(0)
	v_cndmask_b32_e64 v5, v57, 0, vcc
	v_xor_b32_e32 v8, v5, v0
	v_lshl_add_u32 v4, v42, 2, s34
	v_cmp_ge_u32_e32 vcc, v8, v38
	s_mov_b64 s[54:55], 0
                                        ; implicit-def: $vgpr5
                                        ; implicit-def: $vgpr6_vgpr7
	s_and_saveexec_b64 s[52:53], vcc
	s_xor_b64 s[52:53], exec, s[52:53]
	s_cbranch_execz .LBB2_432
; %bb.426:                              ;   in Loop: Header=BB2_161 Depth=2
	v_cmp_eq_u32_e32 vcc, v8, v38
	s_mov_b64 s[56:57], 0
                                        ; implicit-def: $vgpr5
                                        ; implicit-def: $vgpr6_vgpr7
	s_and_saveexec_b64 s[54:55], vcc
	s_cbranch_execz .LBB2_444
; %bb.427:                              ;   in Loop: Header=BB2_161 Depth=2
	s_mov_b64 s[58:59], exec
	v_mbcnt_lo_u32_b32 v5, s58, 0
	v_mbcnt_hi_u32_b32 v5, s59, v5
	v_cmp_eq_u32_e32 vcc, 0, v5
                                        ; implicit-def: $vgpr6
	s_and_saveexec_b64 s[56:57], vcc
	s_cbranch_execz .LBB2_429
; %bb.428:                              ;   in Loop: Header=BB2_161 Depth=2
	s_bcnt1_i32_b64 s40, s[58:59]
	v_mov_b32_e32 v6, s40
	global_atomic_add v6, v29, v6, s[24:25] offset:512 glc
.LBB2_429:                              ;   in Loop: Header=BB2_161 Depth=2
	s_or_b64 exec, exec, s[56:57]
	s_waitcnt vmcnt(0)
	v_readfirstlane_b32 s40, v6
	v_add_u32_e32 v8, s40, v5
	v_cmp_lt_i32_e32 vcc, v8, v39
	s_mov_b64 s[58:59], 0
                                        ; implicit-def: $vgpr5
                                        ; implicit-def: $vgpr6_vgpr7
	s_and_saveexec_b64 s[56:57], vcc
	s_xor_b64 s[56:57], exec, s[56:57]
	s_cbranch_execz .LBB2_443
; %bb.430:                              ;   in Loop: Header=BB2_161 Depth=2
	v_xad_u32 v6, v8, -1, s71
	v_ashrrev_i32_e32 v7, 31, v6
	v_lshlrev_b64 v[8:9], 2, v[6:7]
	v_mov_b32_e32 v5, s61
	v_add_co_u32_e32 v8, vcc, s60, v8
	v_addc_co_u32_e32 v9, vcc, v5, v9, vcc
	s_andn2_b64 vcc, exec, s[26:27]
	global_store_dword v[8:9], v0, off
	s_cbranch_vccnz .LBB2_440
; %bb.431:                              ;   in Loop: Header=BB2_161 Depth=2
	v_ashrrev_i32_e32 v5, 31, v4
	v_lshlrev_b64 v[8:9], 2, v[4:5]
	v_mov_b32_e32 v5, s23
	v_add_co_u32_e32 v8, vcc, s22, v8
	v_addc_co_u32_e32 v9, vcc, v5, v9, vcc
	global_load_dword v5, v[8:9], off
	s_andn2_b64 vcc, exec, s[58:59]
	s_cbranch_vccz .LBB2_441
	s_branch .LBB2_442
.LBB2_432:                              ;   in Loop: Header=BB2_161 Depth=2
	s_andn2_saveexec_b64 s[52:53], s[52:53]
	s_cbranch_execz .LBB2_445
.LBB2_433:                              ;   in Loop: Header=BB2_161 Depth=2
	s_mov_b64 s[58:59], exec
	s_waitcnt vmcnt(0)
	v_mbcnt_lo_u32_b32 v5, s58, 0
	v_mbcnt_hi_u32_b32 v5, s59, v5
	v_cmp_eq_u32_e32 vcc, 0, v5
                                        ; implicit-def: $vgpr6
	s_and_saveexec_b64 s[56:57], vcc
	s_cbranch_execz .LBB2_435
; %bb.434:                              ;   in Loop: Header=BB2_161 Depth=2
	s_bcnt1_i32_b64 s40, s[58:59]
	v_mov_b32_e32 v6, s40
	global_atomic_add v6, v29, v6, s[24:25] offset:384 glc
.LBB2_435:                              ;   in Loop: Header=BB2_161 Depth=2
	s_or_b64 exec, exec, s[56:57]
	s_waitcnt vmcnt(0)
	v_readfirstlane_b32 s40, v6
	v_add_u32_e32 v6, s40, v5
	v_ashrrev_i32_e32 v7, 31, v6
	v_lshlrev_b64 v[8:9], 2, v[6:7]
	v_mov_b32_e32 v5, s61
	v_add_co_u32_e32 v8, vcc, s60, v8
	v_addc_co_u32_e32 v9, vcc, v5, v9, vcc
	s_andn2_b64 vcc, exec, s[26:27]
	global_store_dword v[8:9], v0, off
	s_cbranch_vccnz .LBB2_437
; %bb.436:                              ;   in Loop: Header=BB2_161 Depth=2
	v_ashrrev_i32_e32 v5, 31, v4
	v_lshlrev_b64 v[8:9], 2, v[4:5]
	v_mov_b32_e32 v0, s23
	v_add_co_u32_e32 v8, vcc, s22, v8
	v_addc_co_u32_e32 v9, vcc, v0, v9, vcc
	global_load_dword v5, v[8:9], off
	s_cbranch_execz .LBB2_438
	s_branch .LBB2_439
.LBB2_437:                              ;   in Loop: Header=BB2_161 Depth=2
                                        ; implicit-def: $vgpr5
.LBB2_438:                              ;   in Loop: Header=BB2_161 Depth=2
	s_waitcnt vmcnt(0)
	v_add_u32_e32 v5, s20, v4
.LBB2_439:                              ;   in Loop: Header=BB2_161 Depth=2
	s_or_b64 s[54:55], s[54:55], exec
	s_or_b64 exec, exec, s[52:53]
	s_and_saveexec_b64 s[52:53], s[54:55]
	s_cbranch_execnz .LBB2_446
	s_branch .LBB2_447
.LBB2_440:                              ;   in Loop: Header=BB2_161 Depth=2
                                        ; implicit-def: $vgpr5
.LBB2_441:                              ;   in Loop: Header=BB2_161 Depth=2
	s_waitcnt vmcnt(0)
	v_add_u32_e32 v5, s20, v4
.LBB2_442:                              ;   in Loop: Header=BB2_161 Depth=2
	s_mov_b64 s[58:59], exec
.LBB2_443:                              ;   in Loop: Header=BB2_161 Depth=2
	s_or_b64 exec, exec, s[56:57]
	s_and_b64 s[56:57], s[58:59], exec
.LBB2_444:                              ;   in Loop: Header=BB2_161 Depth=2
	s_or_b64 exec, exec, s[54:55]
	s_and_b64 s[54:55], s[56:57], exec
	s_andn2_saveexec_b64 s[52:53], s[52:53]
	s_cbranch_execnz .LBB2_433
.LBB2_445:                              ;   in Loop: Header=BB2_161 Depth=2
	s_or_b64 exec, exec, s[52:53]
	s_and_saveexec_b64 s[52:53], s[54:55]
	s_cbranch_execz .LBB2_447
.LBB2_446:                              ;   in Loop: Header=BB2_161 Depth=2
	v_lshlrev_b64 v[6:7], 2, v[6:7]
	v_mov_b32_e32 v0, s33
	v_add_co_u32_e32 v6, vcc, s21, v6
	v_addc_co_u32_e32 v7, vcc, v0, v7, vcc
	s_waitcnt vmcnt(0)
	global_store_dword v[6:7], v5, off
.LBB2_447:                              ;   in Loop: Header=BB2_161 Depth=2
	s_or_b64 exec, exec, s[52:53]
	v_cmp_gt_i32_e32 vcc, 0, v1
	s_waitcnt vmcnt(0)
	v_cndmask_b32_e64 v5, v57, 0, vcc
	v_xor_b32_e32 v8, v5, v1
	v_add_u32_e32 v0, 1, v4
	v_cmp_ge_u32_e32 vcc, v8, v38
	s_mov_b64 s[54:55], 0
                                        ; implicit-def: $vgpr5
                                        ; implicit-def: $vgpr6_vgpr7
	s_and_saveexec_b64 s[52:53], vcc
	s_xor_b64 s[52:53], exec, s[52:53]
	s_cbranch_execz .LBB2_454
; %bb.448:                              ;   in Loop: Header=BB2_161 Depth=2
	v_cmp_eq_u32_e32 vcc, v8, v38
	s_mov_b64 s[56:57], 0
                                        ; implicit-def: $vgpr5
                                        ; implicit-def: $vgpr6_vgpr7
	s_and_saveexec_b64 s[54:55], vcc
	s_cbranch_execz .LBB2_466
; %bb.449:                              ;   in Loop: Header=BB2_161 Depth=2
	s_mov_b64 s[58:59], exec
	v_mbcnt_lo_u32_b32 v5, s58, 0
	v_mbcnt_hi_u32_b32 v5, s59, v5
	v_cmp_eq_u32_e32 vcc, 0, v5
                                        ; implicit-def: $vgpr6
	s_and_saveexec_b64 s[56:57], vcc
	s_cbranch_execz .LBB2_451
; %bb.450:                              ;   in Loop: Header=BB2_161 Depth=2
	s_bcnt1_i32_b64 s40, s[58:59]
	v_mov_b32_e32 v6, s40
	global_atomic_add v6, v29, v6, s[24:25] offset:512 glc
.LBB2_451:                              ;   in Loop: Header=BB2_161 Depth=2
	s_or_b64 exec, exec, s[56:57]
	s_waitcnt vmcnt(0)
	v_readfirstlane_b32 s40, v6
	v_add_u32_e32 v8, s40, v5
	v_cmp_lt_i32_e32 vcc, v8, v39
	s_mov_b64 s[58:59], 0
                                        ; implicit-def: $vgpr5
                                        ; implicit-def: $vgpr6_vgpr7
	s_and_saveexec_b64 s[56:57], vcc
	s_cbranch_execz .LBB2_465
; %bb.452:                              ;   in Loop: Header=BB2_161 Depth=2
	v_xad_u32 v6, v8, -1, s71
	v_ashrrev_i32_e32 v7, 31, v6
	v_lshlrev_b64 v[8:9], 2, v[6:7]
	v_mov_b32_e32 v5, s61
	v_add_co_u32_e32 v8, vcc, s60, v8
	v_addc_co_u32_e32 v9, vcc, v5, v9, vcc
	s_andn2_b64 vcc, exec, s[26:27]
	global_store_dword v[8:9], v1, off
	s_cbranch_vccnz .LBB2_462
; %bb.453:                              ;   in Loop: Header=BB2_161 Depth=2
	v_ashrrev_i32_e32 v5, 31, v4
	v_lshlrev_b64 v[8:9], 2, v[4:5]
	v_mov_b32_e32 v5, s35
	v_add_co_u32_e32 v8, vcc, s29, v8
	v_addc_co_u32_e32 v9, vcc, v5, v9, vcc
	global_load_dword v5, v[8:9], off
	s_andn2_b64 vcc, exec, s[58:59]
	s_cbranch_vccz .LBB2_463
	s_branch .LBB2_464
.LBB2_454:                              ;   in Loop: Header=BB2_161 Depth=2
	s_andn2_saveexec_b64 s[52:53], s[52:53]
	s_cbranch_execz .LBB2_467
.LBB2_455:                              ;   in Loop: Header=BB2_161 Depth=2
	s_mov_b64 s[58:59], exec
	s_waitcnt vmcnt(0)
	v_mbcnt_lo_u32_b32 v5, s58, 0
	v_mbcnt_hi_u32_b32 v5, s59, v5
	v_cmp_eq_u32_e32 vcc, 0, v5
                                        ; implicit-def: $vgpr6
	s_and_saveexec_b64 s[56:57], vcc
	s_cbranch_execz .LBB2_457
; %bb.456:                              ;   in Loop: Header=BB2_161 Depth=2
	s_bcnt1_i32_b64 s40, s[58:59]
	v_mov_b32_e32 v6, s40
	global_atomic_add v6, v29, v6, s[24:25] offset:384 glc
.LBB2_457:                              ;   in Loop: Header=BB2_161 Depth=2
	s_or_b64 exec, exec, s[56:57]
	s_waitcnt vmcnt(0)
	v_readfirstlane_b32 s40, v6
	v_add_u32_e32 v6, s40, v5
	v_ashrrev_i32_e32 v7, 31, v6
	v_lshlrev_b64 v[8:9], 2, v[6:7]
	v_mov_b32_e32 v5, s61
	v_add_co_u32_e32 v8, vcc, s60, v8
	v_addc_co_u32_e32 v9, vcc, v5, v9, vcc
	s_andn2_b64 vcc, exec, s[26:27]
	global_store_dword v[8:9], v1, off
	s_cbranch_vccnz .LBB2_459
; %bb.458:                              ;   in Loop: Header=BB2_161 Depth=2
	v_ashrrev_i32_e32 v5, 31, v4
	v_lshlrev_b64 v[8:9], 2, v[4:5]
	v_mov_b32_e32 v1, s35
	v_add_co_u32_e32 v8, vcc, s29, v8
	v_addc_co_u32_e32 v9, vcc, v1, v9, vcc
	global_load_dword v5, v[8:9], off
	s_cbranch_execz .LBB2_460
	s_branch .LBB2_461
.LBB2_459:                              ;   in Loop: Header=BB2_161 Depth=2
                                        ; implicit-def: $vgpr5
.LBB2_460:                              ;   in Loop: Header=BB2_161 Depth=2
	s_waitcnt vmcnt(0)
	v_add_u32_e32 v5, s20, v0
.LBB2_461:                              ;   in Loop: Header=BB2_161 Depth=2
	s_or_b64 s[54:55], s[54:55], exec
	s_or_b64 exec, exec, s[52:53]
	s_and_saveexec_b64 s[52:53], s[54:55]
	s_cbranch_execnz .LBB2_468
	s_branch .LBB2_469
.LBB2_462:                              ;   in Loop: Header=BB2_161 Depth=2
                                        ; implicit-def: $vgpr5
.LBB2_463:                              ;   in Loop: Header=BB2_161 Depth=2
	s_waitcnt vmcnt(0)
	v_add_u32_e32 v5, s20, v0
.LBB2_464:                              ;   in Loop: Header=BB2_161 Depth=2
	s_mov_b64 s[58:59], exec
.LBB2_465:                              ;   in Loop: Header=BB2_161 Depth=2
	s_or_b64 exec, exec, s[56:57]
	s_and_b64 s[56:57], s[58:59], exec
.LBB2_466:                              ;   in Loop: Header=BB2_161 Depth=2
	s_or_b64 exec, exec, s[54:55]
	s_and_b64 s[54:55], s[56:57], exec
                                        ; implicit-def: $vgpr0
	s_andn2_saveexec_b64 s[52:53], s[52:53]
	s_cbranch_execnz .LBB2_455
.LBB2_467:                              ;   in Loop: Header=BB2_161 Depth=2
	s_or_b64 exec, exec, s[52:53]
	s_and_saveexec_b64 s[52:53], s[54:55]
	s_cbranch_execz .LBB2_469
.LBB2_468:                              ;   in Loop: Header=BB2_161 Depth=2
	v_lshlrev_b64 v[0:1], 2, v[6:7]
	v_mov_b32_e32 v6, s33
	v_add_co_u32_e32 v0, vcc, s21, v0
	v_addc_co_u32_e32 v1, vcc, v6, v1, vcc
	s_waitcnt vmcnt(0)
	global_store_dword v[0:1], v5, off
.LBB2_469:                              ;   in Loop: Header=BB2_161 Depth=2
	s_or_b64 exec, exec, s[52:53]
	v_cmp_gt_i32_e32 vcc, 0, v2
	v_cndmask_b32_e64 v0, v57, 0, vcc
	v_xor_b32_e32 v7, v0, v2
	v_add_u32_e32 v6, 2, v4
	v_cmp_ge_u32_e32 vcc, v7, v38
	s_mov_b64 s[54:55], 0
                                        ; implicit-def: $vgpr5
                                        ; implicit-def: $vgpr0_vgpr1
	s_and_saveexec_b64 s[52:53], vcc
	s_xor_b64 s[52:53], exec, s[52:53]
	s_cbranch_execz .LBB2_476
; %bb.470:                              ;   in Loop: Header=BB2_161 Depth=2
	v_cmp_eq_u32_e32 vcc, v7, v38
	s_mov_b64 s[56:57], 0
                                        ; implicit-def: $vgpr5
                                        ; implicit-def: $vgpr0_vgpr1
	s_and_saveexec_b64 s[54:55], vcc
	s_cbranch_execz .LBB2_488
; %bb.471:                              ;   in Loop: Header=BB2_161 Depth=2
	s_mov_b64 s[58:59], exec
	v_mbcnt_lo_u32_b32 v0, s58, 0
	v_mbcnt_hi_u32_b32 v0, s59, v0
	v_cmp_eq_u32_e32 vcc, 0, v0
                                        ; implicit-def: $vgpr1
	s_and_saveexec_b64 s[56:57], vcc
	s_cbranch_execz .LBB2_473
; %bb.472:                              ;   in Loop: Header=BB2_161 Depth=2
	s_bcnt1_i32_b64 s40, s[58:59]
	v_mov_b32_e32 v1, s40
	global_atomic_add v1, v29, v1, s[24:25] offset:512 glc
.LBB2_473:                              ;   in Loop: Header=BB2_161 Depth=2
	s_or_b64 exec, exec, s[56:57]
	s_waitcnt vmcnt(0)
	v_readfirstlane_b32 s40, v1
	v_add_u32_e32 v7, s40, v0
	v_cmp_lt_i32_e32 vcc, v7, v39
	s_mov_b64 s[58:59], 0
                                        ; implicit-def: $vgpr5
                                        ; implicit-def: $vgpr0_vgpr1
	s_and_saveexec_b64 s[56:57], vcc
	s_cbranch_execz .LBB2_487
; %bb.474:                              ;   in Loop: Header=BB2_161 Depth=2
	v_xad_u32 v0, v7, -1, s71
	v_ashrrev_i32_e32 v1, 31, v0
	v_lshlrev_b64 v[8:9], 2, v[0:1]
	v_mov_b32_e32 v5, s61
	v_add_co_u32_e32 v8, vcc, s60, v8
	v_addc_co_u32_e32 v9, vcc, v5, v9, vcc
	s_andn2_b64 vcc, exec, s[26:27]
	global_store_dword v[8:9], v2, off
	s_cbranch_vccnz .LBB2_484
; %bb.475:                              ;   in Loop: Header=BB2_161 Depth=2
	v_ashrrev_i32_e32 v5, 31, v4
	v_lshlrev_b64 v[8:9], 2, v[4:5]
	v_mov_b32_e32 v5, s65
	v_add_co_u32_e32 v8, vcc, s64, v8
	v_addc_co_u32_e32 v9, vcc, v5, v9, vcc
	global_load_dword v5, v[8:9], off
	s_andn2_b64 vcc, exec, s[58:59]
	s_cbranch_vccz .LBB2_485
	s_branch .LBB2_486
.LBB2_476:                              ;   in Loop: Header=BB2_161 Depth=2
	s_andn2_saveexec_b64 s[52:53], s[52:53]
	s_cbranch_execz .LBB2_489
.LBB2_477:                              ;   in Loop: Header=BB2_161 Depth=2
	s_mov_b64 s[58:59], exec
	v_mbcnt_lo_u32_b32 v0, s58, 0
	v_mbcnt_hi_u32_b32 v0, s59, v0
	v_cmp_eq_u32_e32 vcc, 0, v0
                                        ; implicit-def: $vgpr1
	s_and_saveexec_b64 s[56:57], vcc
	s_cbranch_execz .LBB2_479
; %bb.478:                              ;   in Loop: Header=BB2_161 Depth=2
	s_bcnt1_i32_b64 s40, s[58:59]
	v_mov_b32_e32 v1, s40
	global_atomic_add v1, v29, v1, s[24:25] offset:384 glc
.LBB2_479:                              ;   in Loop: Header=BB2_161 Depth=2
	s_or_b64 exec, exec, s[56:57]
	s_waitcnt vmcnt(0)
	v_readfirstlane_b32 s40, v1
	v_add_u32_e32 v0, s40, v0
	v_ashrrev_i32_e32 v1, 31, v0
	v_lshlrev_b64 v[8:9], 2, v[0:1]
	v_mov_b32_e32 v5, s61
	v_add_co_u32_e32 v8, vcc, s60, v8
	v_addc_co_u32_e32 v9, vcc, v5, v9, vcc
	s_andn2_b64 vcc, exec, s[26:27]
	global_store_dword v[8:9], v2, off
	s_cbranch_vccnz .LBB2_481
; %bb.480:                              ;   in Loop: Header=BB2_161 Depth=2
	v_ashrrev_i32_e32 v5, 31, v4
	v_lshlrev_b64 v[8:9], 2, v[4:5]
	v_mov_b32_e32 v2, s65
	v_add_co_u32_e32 v8, vcc, s64, v8
	v_addc_co_u32_e32 v9, vcc, v2, v9, vcc
	global_load_dword v5, v[8:9], off
	s_cbranch_execz .LBB2_482
	s_branch .LBB2_483
.LBB2_481:                              ;   in Loop: Header=BB2_161 Depth=2
                                        ; implicit-def: $vgpr5
.LBB2_482:                              ;   in Loop: Header=BB2_161 Depth=2
	s_waitcnt vmcnt(0)
	v_add_u32_e32 v5, s20, v6
.LBB2_483:                              ;   in Loop: Header=BB2_161 Depth=2
	s_or_b64 s[54:55], s[54:55], exec
	s_or_b64 exec, exec, s[52:53]
	s_and_saveexec_b64 s[52:53], s[54:55]
	s_cbranch_execnz .LBB2_490
	s_branch .LBB2_491
.LBB2_484:                              ;   in Loop: Header=BB2_161 Depth=2
                                        ; implicit-def: $vgpr5
.LBB2_485:                              ;   in Loop: Header=BB2_161 Depth=2
	s_waitcnt vmcnt(0)
	v_add_u32_e32 v5, s20, v6
.LBB2_486:                              ;   in Loop: Header=BB2_161 Depth=2
	s_mov_b64 s[58:59], exec
.LBB2_487:                              ;   in Loop: Header=BB2_161 Depth=2
	s_or_b64 exec, exec, s[56:57]
	s_and_b64 s[56:57], s[58:59], exec
.LBB2_488:                              ;   in Loop: Header=BB2_161 Depth=2
	s_or_b64 exec, exec, s[54:55]
	s_and_b64 s[54:55], s[56:57], exec
                                        ; implicit-def: $vgpr6
	s_andn2_saveexec_b64 s[52:53], s[52:53]
	s_cbranch_execnz .LBB2_477
.LBB2_489:                              ;   in Loop: Header=BB2_161 Depth=2
	s_or_b64 exec, exec, s[52:53]
	s_and_saveexec_b64 s[52:53], s[54:55]
	s_cbranch_execz .LBB2_491
.LBB2_490:                              ;   in Loop: Header=BB2_161 Depth=2
	v_lshlrev_b64 v[0:1], 2, v[0:1]
	v_mov_b32_e32 v2, s33
	v_add_co_u32_e32 v0, vcc, s21, v0
	v_addc_co_u32_e32 v1, vcc, v2, v1, vcc
	s_waitcnt vmcnt(0)
	global_store_dword v[0:1], v5, off
.LBB2_491:                              ;   in Loop: Header=BB2_161 Depth=2
	s_or_b64 exec, exec, s[52:53]
	v_cmp_gt_i32_e32 vcc, 0, v3
	v_cndmask_b32_e64 v0, v57, 0, vcc
	v_xor_b32_e32 v0, v0, v3
	v_add_u32_e32 v8, 3, v4
	v_cmp_ge_u32_e32 vcc, v0, v38
	s_mov_b64 s[54:55], 0
                                        ; implicit-def: $vgpr5
                                        ; implicit-def: $vgpr6_vgpr7
	s_and_saveexec_b64 s[52:53], vcc
	s_xor_b64 s[52:53], exec, s[52:53]
	s_cbranch_execz .LBB2_498
; %bb.492:                              ;   in Loop: Header=BB2_161 Depth=2
	v_cmp_eq_u32_e32 vcc, v0, v38
	s_mov_b64 s[56:57], 0
                                        ; implicit-def: $vgpr5
                                        ; implicit-def: $vgpr6_vgpr7
	s_and_saveexec_b64 s[54:55], vcc
	s_cbranch_execz .LBB2_510
; %bb.493:                              ;   in Loop: Header=BB2_161 Depth=2
	s_mov_b64 s[58:59], exec
	v_mbcnt_lo_u32_b32 v0, s58, 0
	v_mbcnt_hi_u32_b32 v0, s59, v0
	v_cmp_eq_u32_e32 vcc, 0, v0
                                        ; implicit-def: $vgpr1
	s_and_saveexec_b64 s[56:57], vcc
	s_cbranch_execz .LBB2_495
; %bb.494:                              ;   in Loop: Header=BB2_161 Depth=2
	s_bcnt1_i32_b64 s40, s[58:59]
	v_mov_b32_e32 v1, s40
	global_atomic_add v1, v29, v1, s[24:25] offset:512 glc
.LBB2_495:                              ;   in Loop: Header=BB2_161 Depth=2
	s_or_b64 exec, exec, s[56:57]
	s_waitcnt vmcnt(0)
	v_readfirstlane_b32 s40, v1
	v_add_u32_e32 v0, s40, v0
	v_cmp_lt_i32_e32 vcc, v0, v39
	s_mov_b64 s[58:59], 0
                                        ; implicit-def: $vgpr5
                                        ; implicit-def: $vgpr6_vgpr7
	s_and_saveexec_b64 s[56:57], vcc
	s_cbranch_execz .LBB2_509
; %bb.496:                              ;   in Loop: Header=BB2_161 Depth=2
	v_xad_u32 v6, v0, -1, s71
	v_ashrrev_i32_e32 v7, 31, v6
	v_lshlrev_b64 v[0:1], 2, v[6:7]
	v_mov_b32_e32 v2, s61
	v_add_co_u32_e32 v0, vcc, s60, v0
	v_addc_co_u32_e32 v1, vcc, v2, v1, vcc
	s_andn2_b64 vcc, exec, s[26:27]
	global_store_dword v[0:1], v3, off
	s_cbranch_vccnz .LBB2_506
; %bb.497:                              ;   in Loop: Header=BB2_161 Depth=2
	v_ashrrev_i32_e32 v5, 31, v4
	v_lshlrev_b64 v[0:1], 2, v[4:5]
	v_mov_b32_e32 v2, s67
	v_add_co_u32_e32 v0, vcc, s66, v0
	v_addc_co_u32_e32 v1, vcc, v2, v1, vcc
	global_load_dword v5, v[0:1], off
	s_andn2_b64 vcc, exec, s[58:59]
	s_cbranch_vccz .LBB2_507
	s_branch .LBB2_508
.LBB2_498:                              ;   in Loop: Header=BB2_161 Depth=2
	s_andn2_saveexec_b64 s[52:53], s[52:53]
	s_cbranch_execz .LBB2_511
.LBB2_499:                              ;   in Loop: Header=BB2_161 Depth=2
	s_mov_b64 s[58:59], exec
	v_mbcnt_lo_u32_b32 v0, s58, 0
	v_mbcnt_hi_u32_b32 v0, s59, v0
	v_cmp_eq_u32_e32 vcc, 0, v0
                                        ; implicit-def: $vgpr1
	s_and_saveexec_b64 s[56:57], vcc
	s_cbranch_execz .LBB2_501
; %bb.500:                              ;   in Loop: Header=BB2_161 Depth=2
	s_bcnt1_i32_b64 s40, s[58:59]
	v_mov_b32_e32 v1, s40
	global_atomic_add v1, v29, v1, s[24:25] offset:384 glc
.LBB2_501:                              ;   in Loop: Header=BB2_161 Depth=2
	s_or_b64 exec, exec, s[56:57]
	s_waitcnt vmcnt(0)
	v_readfirstlane_b32 s40, v1
	v_add_u32_e32 v6, s40, v0
	v_ashrrev_i32_e32 v7, 31, v6
	v_lshlrev_b64 v[0:1], 2, v[6:7]
	v_mov_b32_e32 v2, s61
	v_add_co_u32_e32 v0, vcc, s60, v0
	v_addc_co_u32_e32 v1, vcc, v2, v1, vcc
	s_andn2_b64 vcc, exec, s[26:27]
	global_store_dword v[0:1], v3, off
	s_cbranch_vccnz .LBB2_503
; %bb.502:                              ;   in Loop: Header=BB2_161 Depth=2
	v_ashrrev_i32_e32 v5, 31, v4
	v_lshlrev_b64 v[0:1], 2, v[4:5]
	v_mov_b32_e32 v2, s67
	v_add_co_u32_e32 v0, vcc, s66, v0
	v_addc_co_u32_e32 v1, vcc, v2, v1, vcc
	global_load_dword v5, v[0:1], off
	s_cbranch_execz .LBB2_504
	s_branch .LBB2_505
.LBB2_503:                              ;   in Loop: Header=BB2_161 Depth=2
                                        ; implicit-def: $vgpr5
.LBB2_504:                              ;   in Loop: Header=BB2_161 Depth=2
	s_waitcnt vmcnt(0)
	v_add_u32_e32 v5, s20, v8
.LBB2_505:                              ;   in Loop: Header=BB2_161 Depth=2
	s_or_b64 s[54:55], s[54:55], exec
	s_or_b64 exec, exec, s[52:53]
	s_and_saveexec_b64 s[52:53], s[54:55]
	s_cbranch_execz .LBB2_160
	s_branch .LBB2_512
.LBB2_506:                              ;   in Loop: Header=BB2_161 Depth=2
                                        ; implicit-def: $vgpr5
.LBB2_507:                              ;   in Loop: Header=BB2_161 Depth=2
	s_waitcnt vmcnt(0)
	v_add_u32_e32 v5, s20, v8
.LBB2_508:                              ;   in Loop: Header=BB2_161 Depth=2
	s_mov_b64 s[58:59], exec
.LBB2_509:                              ;   in Loop: Header=BB2_161 Depth=2
	s_or_b64 exec, exec, s[56:57]
	s_and_b64 s[56:57], s[58:59], exec
.LBB2_510:                              ;   in Loop: Header=BB2_161 Depth=2
	s_or_b64 exec, exec, s[54:55]
	s_and_b64 s[54:55], s[56:57], exec
                                        ; implicit-def: $vgpr8
                                        ; implicit-def: $vgpr4
                                        ; implicit-def: $vgpr0_vgpr1_vgpr2_vgpr3
	s_andn2_saveexec_b64 s[52:53], s[52:53]
	s_cbranch_execnz .LBB2_499
.LBB2_511:                              ;   in Loop: Header=BB2_161 Depth=2
	s_or_b64 exec, exec, s[52:53]
	s_and_saveexec_b64 s[52:53], s[54:55]
	s_cbranch_execz .LBB2_160
.LBB2_512:                              ;   in Loop: Header=BB2_161 Depth=2
	v_lshlrev_b64 v[0:1], 2, v[6:7]
	v_mov_b32_e32 v2, s33
	v_add_co_u32_e32 v0, vcc, s21, v0
	v_addc_co_u32_e32 v1, vcc, v2, v1, vcc
	s_waitcnt vmcnt(0)
	global_store_dword v[0:1], v5, off
	s_branch .LBB2_160
.LBB2_513:                              ;   in Loop: Header=BB2_22 Depth=1
	s_or_b64 exec, exec, s[50:51]
.LBB2_514:                              ;   in Loop: Header=BB2_22 Depth=1
	s_or_b64 exec, exec, s[6:7]
	v_cmp_gt_i32_e32 vcc, s30, v40
	s_and_saveexec_b64 s[6:7], vcc
	s_cbranch_execz .LBB2_605
; %bb.515:                              ;   in Loop: Header=BB2_22 Depth=1
	v_lshl_add_u32 v4, v40, 2, s34
	s_mov_b64 s[50:51], 0
	s_branch .LBB2_517
.LBB2_516:                              ;   in Loop: Header=BB2_517 Depth=2
	s_or_b64 exec, exec, s[52:53]
	v_add_u32_e32 v40, s28, v40
	v_cmp_le_i32_e32 vcc, s30, v40
	s_or_b64 s[50:51], vcc, s[50:51]
	v_add_u32_e32 v4, s63, v4
	s_andn2_b64 exec, exec, s[50:51]
	s_cbranch_execz .LBB2_605
.LBB2_517:                              ;   Parent Loop BB2_22 Depth=1
                                        ; =>  This Inner Loop Header: Depth=2
	v_ashrrev_i32_e32 v41, 31, v40
	v_lshlrev_b64 v[0:1], 4, v[40:41]
	v_mov_b32_e32 v2, s68
	v_add_co_u32_e32 v0, vcc, s62, v0
	v_addc_co_u32_e32 v1, vcc, v2, v1, vcc
	global_load_dwordx4 v[0:3], v[0:1], off
	v_lshl_add_u32 v8, v40, 2, s34
	s_mov_b64 s[54:55], 0
                                        ; implicit-def: $vgpr6_vgpr7
	s_waitcnt vmcnt(0)
	v_cmp_gt_i32_e32 vcc, 0, v0
	v_cndmask_b32_e64 v5, v57, 0, vcc
	v_xor_b32_e32 v9, v5, v0
	s_waitcnt lgkmcnt(0)
	v_cmp_ge_u32_e32 vcc, v9, v38
                                        ; implicit-def: $vgpr5
	s_and_saveexec_b64 s[52:53], vcc
	s_xor_b64 s[52:53], exec, s[52:53]
	s_cbranch_execz .LBB2_524
; %bb.518:                              ;   in Loop: Header=BB2_517 Depth=2
	v_cmp_eq_u32_e32 vcc, v9, v38
	s_mov_b64 s[56:57], 0
                                        ; implicit-def: $vgpr5
                                        ; implicit-def: $vgpr6_vgpr7
	s_and_saveexec_b64 s[54:55], vcc
	s_cbranch_execz .LBB2_536
; %bb.519:                              ;   in Loop: Header=BB2_517 Depth=2
	s_mov_b64 s[58:59], exec
	v_mbcnt_lo_u32_b32 v5, s58, 0
	v_mbcnt_hi_u32_b32 v5, s59, v5
	v_cmp_eq_u32_e32 vcc, 0, v5
                                        ; implicit-def: $vgpr6
	s_and_saveexec_b64 s[56:57], vcc
	s_cbranch_execz .LBB2_521
; %bb.520:                              ;   in Loop: Header=BB2_517 Depth=2
	s_bcnt1_i32_b64 s40, s[58:59]
	v_mov_b32_e32 v6, s40
	global_atomic_add v6, v29, v6, s[24:25] offset:512 glc
.LBB2_521:                              ;   in Loop: Header=BB2_517 Depth=2
	s_or_b64 exec, exec, s[56:57]
	s_waitcnt vmcnt(0)
	v_readfirstlane_b32 s40, v6
	v_add_u32_e32 v9, s40, v5
	v_cmp_lt_i32_e32 vcc, v9, v39
	s_mov_b64 s[58:59], 0
                                        ; implicit-def: $vgpr5
                                        ; implicit-def: $vgpr6_vgpr7
	s_and_saveexec_b64 s[56:57], vcc
	s_xor_b64 s[56:57], exec, s[56:57]
	s_cbranch_execz .LBB2_535
; %bb.522:                              ;   in Loop: Header=BB2_517 Depth=2
	v_xad_u32 v6, v9, -1, s71
	v_ashrrev_i32_e32 v7, 31, v6
	v_lshlrev_b64 v[10:11], 2, v[6:7]
	v_mov_b32_e32 v5, s61
	v_add_co_u32_e32 v10, vcc, s60, v10
	v_addc_co_u32_e32 v11, vcc, v5, v11, vcc
	s_andn2_b64 vcc, exec, s[26:27]
	global_store_dword v[10:11], v0, off
	s_cbranch_vccnz .LBB2_532
; %bb.523:                              ;   in Loop: Header=BB2_517 Depth=2
	v_ashrrev_i32_e32 v5, 31, v4
	v_lshlrev_b64 v[10:11], 2, v[4:5]
	v_mov_b32_e32 v5, s23
	v_add_co_u32_e32 v10, vcc, s22, v10
	v_addc_co_u32_e32 v11, vcc, v5, v11, vcc
	global_load_dword v5, v[10:11], off
	s_andn2_b64 vcc, exec, s[58:59]
	s_cbranch_vccz .LBB2_533
	s_branch .LBB2_534
.LBB2_524:                              ;   in Loop: Header=BB2_517 Depth=2
	s_andn2_saveexec_b64 s[52:53], s[52:53]
	s_cbranch_execz .LBB2_537
.LBB2_525:                              ;   in Loop: Header=BB2_517 Depth=2
	s_mov_b64 s[58:59], exec
	s_waitcnt vmcnt(0)
	v_mbcnt_lo_u32_b32 v5, s58, 0
	v_mbcnt_hi_u32_b32 v5, s59, v5
	v_cmp_eq_u32_e32 vcc, 0, v5
                                        ; implicit-def: $vgpr6
	s_and_saveexec_b64 s[56:57], vcc
	s_cbranch_execz .LBB2_527
; %bb.526:                              ;   in Loop: Header=BB2_517 Depth=2
	s_bcnt1_i32_b64 s40, s[58:59]
	v_mov_b32_e32 v6, s40
	global_atomic_add v6, v29, v6, s[24:25] offset:384 glc
.LBB2_527:                              ;   in Loop: Header=BB2_517 Depth=2
	s_or_b64 exec, exec, s[56:57]
	s_waitcnt vmcnt(0)
	v_readfirstlane_b32 s40, v6
	v_add_u32_e32 v6, s40, v5
	v_ashrrev_i32_e32 v7, 31, v6
	v_lshlrev_b64 v[10:11], 2, v[6:7]
	v_mov_b32_e32 v5, s61
	v_add_co_u32_e32 v10, vcc, s60, v10
	v_addc_co_u32_e32 v11, vcc, v5, v11, vcc
	s_andn2_b64 vcc, exec, s[26:27]
	global_store_dword v[10:11], v0, off
	s_cbranch_vccnz .LBB2_529
; %bb.528:                              ;   in Loop: Header=BB2_517 Depth=2
	v_ashrrev_i32_e32 v5, 31, v4
	v_lshlrev_b64 v[10:11], 2, v[4:5]
	v_mov_b32_e32 v0, s23
	v_add_co_u32_e32 v10, vcc, s22, v10
	v_addc_co_u32_e32 v11, vcc, v0, v11, vcc
	global_load_dword v5, v[10:11], off
	s_cbranch_execz .LBB2_530
	s_branch .LBB2_531
.LBB2_529:                              ;   in Loop: Header=BB2_517 Depth=2
                                        ; implicit-def: $vgpr5
.LBB2_530:                              ;   in Loop: Header=BB2_517 Depth=2
	s_waitcnt vmcnt(0)
	v_add_u32_e32 v5, s20, v4
.LBB2_531:                              ;   in Loop: Header=BB2_517 Depth=2
	s_or_b64 s[54:55], s[54:55], exec
	s_or_b64 exec, exec, s[52:53]
	s_and_saveexec_b64 s[52:53], s[54:55]
	s_cbranch_execnz .LBB2_538
	s_branch .LBB2_539
.LBB2_532:                              ;   in Loop: Header=BB2_517 Depth=2
                                        ; implicit-def: $vgpr5
.LBB2_533:                              ;   in Loop: Header=BB2_517 Depth=2
	s_waitcnt vmcnt(0)
	v_add_u32_e32 v5, s20, v8
.LBB2_534:                              ;   in Loop: Header=BB2_517 Depth=2
	s_mov_b64 s[58:59], exec
.LBB2_535:                              ;   in Loop: Header=BB2_517 Depth=2
	s_or_b64 exec, exec, s[56:57]
	s_and_b64 s[56:57], s[58:59], exec
.LBB2_536:                              ;   in Loop: Header=BB2_517 Depth=2
	s_or_b64 exec, exec, s[54:55]
	s_and_b64 s[54:55], s[56:57], exec
	s_andn2_saveexec_b64 s[52:53], s[52:53]
	s_cbranch_execnz .LBB2_525
.LBB2_537:                              ;   in Loop: Header=BB2_517 Depth=2
	s_or_b64 exec, exec, s[52:53]
	s_and_saveexec_b64 s[52:53], s[54:55]
	s_cbranch_execz .LBB2_539
.LBB2_538:                              ;   in Loop: Header=BB2_517 Depth=2
	v_lshlrev_b64 v[6:7], 2, v[6:7]
	v_mov_b32_e32 v0, s33
	v_add_co_u32_e32 v6, vcc, s21, v6
	v_addc_co_u32_e32 v7, vcc, v0, v7, vcc
	s_waitcnt vmcnt(0)
	global_store_dword v[6:7], v5, off
.LBB2_539:                              ;   in Loop: Header=BB2_517 Depth=2
	s_or_b64 exec, exec, s[52:53]
	v_cmp_gt_i32_e32 vcc, 0, v1
	v_cndmask_b32_e64 v0, v57, 0, vcc
	s_waitcnt vmcnt(0)
	v_xor_b32_e32 v5, v0, v1
	v_cmp_ge_u32_e32 vcc, v5, v38
	s_mov_b64 s[54:55], 0
                                        ; implicit-def: $vgpr0
                                        ; implicit-def: $vgpr6_vgpr7
	s_and_saveexec_b64 s[52:53], vcc
	s_xor_b64 s[52:53], exec, s[52:53]
	s_cbranch_execz .LBB2_546
; %bb.540:                              ;   in Loop: Header=BB2_517 Depth=2
	v_cmp_eq_u32_e32 vcc, v5, v38
	s_mov_b64 s[56:57], 0
                                        ; implicit-def: $vgpr0
                                        ; implicit-def: $vgpr6_vgpr7
	s_and_saveexec_b64 s[54:55], vcc
	s_cbranch_execz .LBB2_558
; %bb.541:                              ;   in Loop: Header=BB2_517 Depth=2
	s_mov_b64 s[58:59], exec
	v_mbcnt_lo_u32_b32 v0, s58, 0
	v_mbcnt_hi_u32_b32 v0, s59, v0
	v_cmp_eq_u32_e32 vcc, 0, v0
                                        ; implicit-def: $vgpr5
	s_and_saveexec_b64 s[56:57], vcc
	s_cbranch_execz .LBB2_543
; %bb.542:                              ;   in Loop: Header=BB2_517 Depth=2
	s_bcnt1_i32_b64 s40, s[58:59]
	v_mov_b32_e32 v5, s40
	global_atomic_add v5, v29, v5, s[24:25] offset:512 glc
.LBB2_543:                              ;   in Loop: Header=BB2_517 Depth=2
	s_or_b64 exec, exec, s[56:57]
	s_waitcnt vmcnt(0)
	v_readfirstlane_b32 s40, v5
	v_add_u32_e32 v5, s40, v0
	v_cmp_lt_i32_e32 vcc, v5, v39
	s_mov_b64 s[58:59], 0
                                        ; implicit-def: $vgpr0
                                        ; implicit-def: $vgpr6_vgpr7
	s_and_saveexec_b64 s[56:57], vcc
	s_cbranch_execz .LBB2_557
; %bb.544:                              ;   in Loop: Header=BB2_517 Depth=2
	v_xad_u32 v6, v5, -1, s71
	v_ashrrev_i32_e32 v7, 31, v6
	v_lshlrev_b64 v[10:11], 2, v[6:7]
	v_mov_b32_e32 v0, s61
	v_add_co_u32_e32 v10, vcc, s60, v10
	v_addc_co_u32_e32 v11, vcc, v0, v11, vcc
	s_andn2_b64 vcc, exec, s[26:27]
	global_store_dword v[10:11], v1, off
	s_cbranch_vccnz .LBB2_554
; %bb.545:                              ;   in Loop: Header=BB2_517 Depth=2
	v_ashrrev_i32_e32 v5, 31, v4
	v_lshlrev_b64 v[10:11], 2, v[4:5]
	v_mov_b32_e32 v0, s35
	v_add_co_u32_e32 v10, vcc, s29, v10
	v_addc_co_u32_e32 v11, vcc, v0, v11, vcc
	global_load_dword v0, v[10:11], off
	s_andn2_b64 vcc, exec, s[58:59]
	s_cbranch_vccz .LBB2_555
	s_branch .LBB2_556
.LBB2_546:                              ;   in Loop: Header=BB2_517 Depth=2
	s_andn2_saveexec_b64 s[52:53], s[52:53]
	s_cbranch_execz .LBB2_559
.LBB2_547:                              ;   in Loop: Header=BB2_517 Depth=2
	s_mov_b64 s[58:59], exec
	s_waitcnt vmcnt(0)
	v_mbcnt_lo_u32_b32 v0, s58, 0
	v_mbcnt_hi_u32_b32 v0, s59, v0
	v_cmp_eq_u32_e32 vcc, 0, v0
                                        ; implicit-def: $vgpr5
	s_and_saveexec_b64 s[56:57], vcc
	s_cbranch_execz .LBB2_549
; %bb.548:                              ;   in Loop: Header=BB2_517 Depth=2
	s_bcnt1_i32_b64 s40, s[58:59]
	v_mov_b32_e32 v5, s40
	global_atomic_add v5, v29, v5, s[24:25] offset:384 glc
.LBB2_549:                              ;   in Loop: Header=BB2_517 Depth=2
	s_or_b64 exec, exec, s[56:57]
	s_waitcnt vmcnt(0)
	v_readfirstlane_b32 s40, v5
	v_add_u32_e32 v6, s40, v0
	v_ashrrev_i32_e32 v7, 31, v6
	v_lshlrev_b64 v[10:11], 2, v[6:7]
	v_mov_b32_e32 v0, s61
	v_add_co_u32_e32 v10, vcc, s60, v10
	v_addc_co_u32_e32 v11, vcc, v0, v11, vcc
	s_andn2_b64 vcc, exec, s[26:27]
	global_store_dword v[10:11], v1, off
	s_cbranch_vccnz .LBB2_551
; %bb.550:                              ;   in Loop: Header=BB2_517 Depth=2
	v_ashrrev_i32_e32 v5, 31, v4
	v_lshlrev_b64 v[0:1], 2, v[4:5]
	v_mov_b32_e32 v5, s35
	v_add_co_u32_e32 v0, vcc, s29, v0
	v_addc_co_u32_e32 v1, vcc, v5, v1, vcc
	global_load_dword v0, v[0:1], off
	s_cbranch_execz .LBB2_552
	s_branch .LBB2_553
.LBB2_551:                              ;   in Loop: Header=BB2_517 Depth=2
                                        ; implicit-def: $vgpr0
.LBB2_552:                              ;   in Loop: Header=BB2_517 Depth=2
	s_waitcnt vmcnt(0)
	v_add3_u32 v0, s20, v4, 1
.LBB2_553:                              ;   in Loop: Header=BB2_517 Depth=2
	s_or_b64 s[54:55], s[54:55], exec
	s_or_b64 exec, exec, s[52:53]
	s_and_saveexec_b64 s[52:53], s[54:55]
	s_cbranch_execnz .LBB2_560
	s_branch .LBB2_561
.LBB2_554:                              ;   in Loop: Header=BB2_517 Depth=2
                                        ; implicit-def: $vgpr0
.LBB2_555:                              ;   in Loop: Header=BB2_517 Depth=2
	s_waitcnt vmcnt(0)
	v_add3_u32 v0, v8, s20, 1
.LBB2_556:                              ;   in Loop: Header=BB2_517 Depth=2
	s_mov_b64 s[58:59], exec
.LBB2_557:                              ;   in Loop: Header=BB2_517 Depth=2
	s_or_b64 exec, exec, s[56:57]
	s_and_b64 s[56:57], s[58:59], exec
.LBB2_558:                              ;   in Loop: Header=BB2_517 Depth=2
	s_or_b64 exec, exec, s[54:55]
	s_and_b64 s[54:55], s[56:57], exec
	s_andn2_saveexec_b64 s[52:53], s[52:53]
	s_cbranch_execnz .LBB2_547
.LBB2_559:                              ;   in Loop: Header=BB2_517 Depth=2
	s_or_b64 exec, exec, s[52:53]
	s_and_saveexec_b64 s[52:53], s[54:55]
	s_cbranch_execz .LBB2_561
.LBB2_560:                              ;   in Loop: Header=BB2_517 Depth=2
	v_lshlrev_b64 v[6:7], 2, v[6:7]
	v_mov_b32_e32 v1, s33
	v_add_co_u32_e32 v6, vcc, s21, v6
	v_addc_co_u32_e32 v7, vcc, v1, v7, vcc
	s_waitcnt vmcnt(0)
	global_store_dword v[6:7], v0, off
.LBB2_561:                              ;   in Loop: Header=BB2_517 Depth=2
	s_or_b64 exec, exec, s[52:53]
	v_cmp_gt_i32_e32 vcc, 0, v2
	s_waitcnt vmcnt(0)
	v_cndmask_b32_e64 v0, v57, 0, vcc
	v_xor_b32_e32 v6, v0, v2
	v_cmp_ge_u32_e32 vcc, v6, v38
	s_mov_b64 s[54:55], 0
                                        ; implicit-def: $vgpr5
                                        ; implicit-def: $vgpr0_vgpr1
	s_and_saveexec_b64 s[52:53], vcc
	s_xor_b64 s[52:53], exec, s[52:53]
	s_cbranch_execz .LBB2_568
; %bb.562:                              ;   in Loop: Header=BB2_517 Depth=2
	v_cmp_eq_u32_e32 vcc, v6, v38
	s_mov_b64 s[56:57], 0
                                        ; implicit-def: $vgpr5
                                        ; implicit-def: $vgpr0_vgpr1
	s_and_saveexec_b64 s[54:55], vcc
	s_cbranch_execz .LBB2_580
; %bb.563:                              ;   in Loop: Header=BB2_517 Depth=2
	s_mov_b64 s[58:59], exec
	v_mbcnt_lo_u32_b32 v0, s58, 0
	v_mbcnt_hi_u32_b32 v0, s59, v0
	v_cmp_eq_u32_e32 vcc, 0, v0
                                        ; implicit-def: $vgpr1
	s_and_saveexec_b64 s[56:57], vcc
	s_cbranch_execz .LBB2_565
; %bb.564:                              ;   in Loop: Header=BB2_517 Depth=2
	s_bcnt1_i32_b64 s40, s[58:59]
	v_mov_b32_e32 v1, s40
	global_atomic_add v1, v29, v1, s[24:25] offset:512 glc
.LBB2_565:                              ;   in Loop: Header=BB2_517 Depth=2
	s_or_b64 exec, exec, s[56:57]
	s_waitcnt vmcnt(0)
	v_readfirstlane_b32 s40, v1
	v_add_u32_e32 v6, s40, v0
	v_cmp_lt_i32_e32 vcc, v6, v39
	s_mov_b64 s[58:59], 0
                                        ; implicit-def: $vgpr5
                                        ; implicit-def: $vgpr0_vgpr1
	s_and_saveexec_b64 s[56:57], vcc
	s_cbranch_execz .LBB2_579
; %bb.566:                              ;   in Loop: Header=BB2_517 Depth=2
	v_xad_u32 v0, v6, -1, s71
	v_ashrrev_i32_e32 v1, 31, v0
	v_lshlrev_b64 v[6:7], 2, v[0:1]
	v_mov_b32_e32 v5, s61
	v_add_co_u32_e32 v6, vcc, s60, v6
	v_addc_co_u32_e32 v7, vcc, v5, v7, vcc
	s_andn2_b64 vcc, exec, s[26:27]
	global_store_dword v[6:7], v2, off
	s_cbranch_vccnz .LBB2_576
; %bb.567:                              ;   in Loop: Header=BB2_517 Depth=2
	v_ashrrev_i32_e32 v5, 31, v4
	v_lshlrev_b64 v[6:7], 2, v[4:5]
	v_mov_b32_e32 v5, s65
	v_add_co_u32_e32 v6, vcc, s64, v6
	v_addc_co_u32_e32 v7, vcc, v5, v7, vcc
	global_load_dword v5, v[6:7], off
	s_andn2_b64 vcc, exec, s[58:59]
	s_cbranch_vccz .LBB2_577
	s_branch .LBB2_578
.LBB2_568:                              ;   in Loop: Header=BB2_517 Depth=2
	s_andn2_saveexec_b64 s[52:53], s[52:53]
	s_cbranch_execz .LBB2_581
.LBB2_569:                              ;   in Loop: Header=BB2_517 Depth=2
	s_mov_b64 s[58:59], exec
	v_mbcnt_lo_u32_b32 v0, s58, 0
	v_mbcnt_hi_u32_b32 v0, s59, v0
	v_cmp_eq_u32_e32 vcc, 0, v0
                                        ; implicit-def: $vgpr1
	s_and_saveexec_b64 s[56:57], vcc
	s_cbranch_execz .LBB2_571
; %bb.570:                              ;   in Loop: Header=BB2_517 Depth=2
	s_bcnt1_i32_b64 s40, s[58:59]
	v_mov_b32_e32 v1, s40
	global_atomic_add v1, v29, v1, s[24:25] offset:384 glc
.LBB2_571:                              ;   in Loop: Header=BB2_517 Depth=2
	s_or_b64 exec, exec, s[56:57]
	s_waitcnt vmcnt(0)
	v_readfirstlane_b32 s40, v1
	v_add_u32_e32 v0, s40, v0
	v_ashrrev_i32_e32 v1, 31, v0
	v_lshlrev_b64 v[6:7], 2, v[0:1]
	v_mov_b32_e32 v5, s61
	v_add_co_u32_e32 v6, vcc, s60, v6
	v_addc_co_u32_e32 v7, vcc, v5, v7, vcc
	s_andn2_b64 vcc, exec, s[26:27]
	global_store_dword v[6:7], v2, off
	s_cbranch_vccnz .LBB2_573
; %bb.572:                              ;   in Loop: Header=BB2_517 Depth=2
	v_ashrrev_i32_e32 v5, 31, v4
	v_lshlrev_b64 v[6:7], 2, v[4:5]
	v_mov_b32_e32 v2, s65
	v_add_co_u32_e32 v6, vcc, s64, v6
	v_addc_co_u32_e32 v7, vcc, v2, v7, vcc
	global_load_dword v5, v[6:7], off
	s_cbranch_execz .LBB2_574
	s_branch .LBB2_575
.LBB2_573:                              ;   in Loop: Header=BB2_517 Depth=2
                                        ; implicit-def: $vgpr5
.LBB2_574:                              ;   in Loop: Header=BB2_517 Depth=2
	s_waitcnt vmcnt(0)
	v_add3_u32 v5, s20, v4, 2
.LBB2_575:                              ;   in Loop: Header=BB2_517 Depth=2
	s_or_b64 s[54:55], s[54:55], exec
	s_or_b64 exec, exec, s[52:53]
	s_and_saveexec_b64 s[52:53], s[54:55]
	s_cbranch_execnz .LBB2_582
	s_branch .LBB2_583
.LBB2_576:                              ;   in Loop: Header=BB2_517 Depth=2
                                        ; implicit-def: $vgpr5
.LBB2_577:                              ;   in Loop: Header=BB2_517 Depth=2
	s_waitcnt vmcnt(0)
	v_add3_u32 v5, v8, s20, 2
.LBB2_578:                              ;   in Loop: Header=BB2_517 Depth=2
	s_mov_b64 s[58:59], exec
.LBB2_579:                              ;   in Loop: Header=BB2_517 Depth=2
	s_or_b64 exec, exec, s[56:57]
	s_and_b64 s[56:57], s[58:59], exec
.LBB2_580:                              ;   in Loop: Header=BB2_517 Depth=2
	s_or_b64 exec, exec, s[54:55]
	s_and_b64 s[54:55], s[56:57], exec
	s_andn2_saveexec_b64 s[52:53], s[52:53]
	s_cbranch_execnz .LBB2_569
.LBB2_581:                              ;   in Loop: Header=BB2_517 Depth=2
	s_or_b64 exec, exec, s[52:53]
	s_and_saveexec_b64 s[52:53], s[54:55]
	s_cbranch_execz .LBB2_583
.LBB2_582:                              ;   in Loop: Header=BB2_517 Depth=2
	v_lshlrev_b64 v[0:1], 2, v[0:1]
	v_mov_b32_e32 v2, s33
	v_add_co_u32_e32 v0, vcc, s21, v0
	v_addc_co_u32_e32 v1, vcc, v2, v1, vcc
	s_waitcnt vmcnt(0)
	global_store_dword v[0:1], v5, off
.LBB2_583:                              ;   in Loop: Header=BB2_517 Depth=2
	s_or_b64 exec, exec, s[52:53]
	v_cmp_gt_i32_e32 vcc, 0, v3
	v_cndmask_b32_e64 v0, v57, 0, vcc
	v_xor_b32_e32 v0, v0, v3
	v_cmp_ge_u32_e32 vcc, v0, v38
	s_mov_b64 s[54:55], 0
                                        ; implicit-def: $vgpr5
                                        ; implicit-def: $vgpr6_vgpr7
	s_and_saveexec_b64 s[52:53], vcc
	s_xor_b64 s[52:53], exec, s[52:53]
	s_cbranch_execz .LBB2_590
; %bb.584:                              ;   in Loop: Header=BB2_517 Depth=2
	v_cmp_eq_u32_e32 vcc, v0, v38
	s_mov_b64 s[56:57], 0
                                        ; implicit-def: $vgpr5
                                        ; implicit-def: $vgpr6_vgpr7
	s_and_saveexec_b64 s[54:55], vcc
	s_cbranch_execz .LBB2_602
; %bb.585:                              ;   in Loop: Header=BB2_517 Depth=2
	s_mov_b64 s[58:59], exec
	v_mbcnt_lo_u32_b32 v0, s58, 0
	v_mbcnt_hi_u32_b32 v0, s59, v0
	v_cmp_eq_u32_e32 vcc, 0, v0
                                        ; implicit-def: $vgpr1
	s_and_saveexec_b64 s[56:57], vcc
	s_cbranch_execz .LBB2_587
; %bb.586:                              ;   in Loop: Header=BB2_517 Depth=2
	s_bcnt1_i32_b64 s40, s[58:59]
	v_mov_b32_e32 v1, s40
	global_atomic_add v1, v29, v1, s[24:25] offset:512 glc
.LBB2_587:                              ;   in Loop: Header=BB2_517 Depth=2
	s_or_b64 exec, exec, s[56:57]
	s_waitcnt vmcnt(0)
	v_readfirstlane_b32 s40, v1
	v_add_u32_e32 v0, s40, v0
	v_cmp_lt_i32_e32 vcc, v0, v39
	s_mov_b64 s[58:59], 0
                                        ; implicit-def: $vgpr5
                                        ; implicit-def: $vgpr6_vgpr7
	s_and_saveexec_b64 s[56:57], vcc
	s_cbranch_execz .LBB2_601
; %bb.588:                              ;   in Loop: Header=BB2_517 Depth=2
	v_xad_u32 v6, v0, -1, s71
	v_ashrrev_i32_e32 v7, 31, v6
	v_lshlrev_b64 v[0:1], 2, v[6:7]
	v_mov_b32_e32 v2, s61
	v_add_co_u32_e32 v0, vcc, s60, v0
	v_addc_co_u32_e32 v1, vcc, v2, v1, vcc
	s_andn2_b64 vcc, exec, s[26:27]
	global_store_dword v[0:1], v3, off
	s_cbranch_vccnz .LBB2_598
; %bb.589:                              ;   in Loop: Header=BB2_517 Depth=2
	v_ashrrev_i32_e32 v5, 31, v4
	v_lshlrev_b64 v[0:1], 2, v[4:5]
	v_mov_b32_e32 v2, s67
	v_add_co_u32_e32 v0, vcc, s66, v0
	v_addc_co_u32_e32 v1, vcc, v2, v1, vcc
	global_load_dword v5, v[0:1], off
	s_andn2_b64 vcc, exec, s[58:59]
	s_cbranch_vccz .LBB2_599
	s_branch .LBB2_600
.LBB2_590:                              ;   in Loop: Header=BB2_517 Depth=2
	s_andn2_saveexec_b64 s[52:53], s[52:53]
	s_cbranch_execz .LBB2_603
.LBB2_591:                              ;   in Loop: Header=BB2_517 Depth=2
	s_mov_b64 s[58:59], exec
	v_mbcnt_lo_u32_b32 v0, s58, 0
	v_mbcnt_hi_u32_b32 v0, s59, v0
	v_cmp_eq_u32_e32 vcc, 0, v0
                                        ; implicit-def: $vgpr1
	s_and_saveexec_b64 s[56:57], vcc
	s_cbranch_execz .LBB2_593
; %bb.592:                              ;   in Loop: Header=BB2_517 Depth=2
	s_bcnt1_i32_b64 s40, s[58:59]
	v_mov_b32_e32 v1, s40
	global_atomic_add v1, v29, v1, s[24:25] offset:384 glc
.LBB2_593:                              ;   in Loop: Header=BB2_517 Depth=2
	s_or_b64 exec, exec, s[56:57]
	s_waitcnt vmcnt(0)
	v_readfirstlane_b32 s40, v1
	v_add_u32_e32 v6, s40, v0
	v_ashrrev_i32_e32 v7, 31, v6
	v_lshlrev_b64 v[0:1], 2, v[6:7]
	v_mov_b32_e32 v2, s61
	v_add_co_u32_e32 v0, vcc, s60, v0
	v_addc_co_u32_e32 v1, vcc, v2, v1, vcc
	s_andn2_b64 vcc, exec, s[26:27]
	global_store_dword v[0:1], v3, off
	s_cbranch_vccnz .LBB2_595
; %bb.594:                              ;   in Loop: Header=BB2_517 Depth=2
	v_ashrrev_i32_e32 v5, 31, v4
	v_lshlrev_b64 v[0:1], 2, v[4:5]
	v_mov_b32_e32 v2, s67
	v_add_co_u32_e32 v0, vcc, s66, v0
	v_addc_co_u32_e32 v1, vcc, v2, v1, vcc
	global_load_dword v5, v[0:1], off
	s_cbranch_execz .LBB2_596
	s_branch .LBB2_597
.LBB2_595:                              ;   in Loop: Header=BB2_517 Depth=2
                                        ; implicit-def: $vgpr5
.LBB2_596:                              ;   in Loop: Header=BB2_517 Depth=2
	s_waitcnt vmcnt(0)
	v_add3_u32 v5, s20, v4, 3
.LBB2_597:                              ;   in Loop: Header=BB2_517 Depth=2
	s_or_b64 s[54:55], s[54:55], exec
	s_or_b64 exec, exec, s[52:53]
	s_and_saveexec_b64 s[52:53], s[54:55]
	s_cbranch_execz .LBB2_516
	s_branch .LBB2_604
.LBB2_598:                              ;   in Loop: Header=BB2_517 Depth=2
                                        ; implicit-def: $vgpr5
.LBB2_599:                              ;   in Loop: Header=BB2_517 Depth=2
	s_waitcnt vmcnt(0)
	v_add3_u32 v5, v8, s20, 3
.LBB2_600:                              ;   in Loop: Header=BB2_517 Depth=2
	s_mov_b64 s[58:59], exec
.LBB2_601:                              ;   in Loop: Header=BB2_517 Depth=2
	s_or_b64 exec, exec, s[56:57]
	s_and_b64 s[56:57], s[58:59], exec
.LBB2_602:                              ;   in Loop: Header=BB2_517 Depth=2
	s_or_b64 exec, exec, s[54:55]
	s_and_b64 s[54:55], s[56:57], exec
                                        ; implicit-def: $vgpr0_vgpr1_vgpr2_vgpr3
	s_andn2_saveexec_b64 s[52:53], s[52:53]
	s_cbranch_execnz .LBB2_591
.LBB2_603:                              ;   in Loop: Header=BB2_517 Depth=2
	s_or_b64 exec, exec, s[52:53]
	s_and_saveexec_b64 s[52:53], s[54:55]
	s_cbranch_execz .LBB2_516
.LBB2_604:                              ;   in Loop: Header=BB2_517 Depth=2
	v_lshlrev_b64 v[0:1], 2, v[6:7]
	v_mov_b32_e32 v2, s33
	v_add_co_u32_e32 v0, vcc, s21, v0
	v_addc_co_u32_e32 v1, vcc, v2, v1, vcc
	s_waitcnt vmcnt(0)
	global_store_dword v[0:1], v5, off
	s_branch .LBB2_516
.LBB2_605:                              ;   in Loop: Header=BB2_22 Depth=1
	s_or_b64 exec, exec, s[6:7]
	s_and_saveexec_b64 s[6:7], s[2:3]
	s_cbranch_execz .LBB2_622
; %bb.606:                              ;   in Loop: Header=BB2_22 Depth=1
	global_load_dword v2, v[18:19], off
	s_mov_b64 s[54:55], 0
	s_mov_b64 s[52:53], 0
                                        ; implicit-def: $vgpr3
	s_waitcnt vmcnt(0)
	v_cmp_gt_i32_e32 vcc, 0, v2
	v_cndmask_b32_e64 v0, v57, 0, vcc
	v_xor_b32_e32 v4, v0, v2
	s_waitcnt lgkmcnt(0)
	v_cmp_ge_u32_e32 vcc, v4, v38
                                        ; implicit-def: $vgpr0_vgpr1
	s_and_saveexec_b64 s[50:51], vcc
	s_xor_b64 s[50:51], exec, s[50:51]
	s_cbranch_execz .LBB2_616
; %bb.607:                              ;   in Loop: Header=BB2_22 Depth=1
	v_cmp_eq_u32_e32 vcc, v4, v38
	s_mov_b64 s[58:59], 0
                                        ; implicit-def: $vgpr0_vgpr1
	s_and_saveexec_b64 s[52:53], vcc
	s_cbranch_execz .LBB2_613
; %bb.608:                              ;   in Loop: Header=BB2_22 Depth=1
	s_mov_b64 s[56:57], exec
	v_mbcnt_lo_u32_b32 v0, s56, 0
	v_mbcnt_hi_u32_b32 v0, s57, v0
	v_cmp_eq_u32_e32 vcc, 0, v0
                                        ; implicit-def: $vgpr1
	s_and_saveexec_b64 s[54:55], vcc
	s_cbranch_execz .LBB2_610
; %bb.609:                              ;   in Loop: Header=BB2_22 Depth=1
	s_bcnt1_i32_b64 s40, s[56:57]
	v_mov_b32_e32 v1, s40
	global_atomic_add v1, v29, v1, s[24:25] offset:512 glc
.LBB2_610:                              ;   in Loop: Header=BB2_22 Depth=1
	s_or_b64 exec, exec, s[54:55]
	s_waitcnt vmcnt(0)
	v_readfirstlane_b32 s40, v1
	v_add_u32_e32 v3, s40, v0
	v_cmp_lt_i32_e32 vcc, v3, v39
	s_mov_b64 s[56:57], 0
                                        ; implicit-def: $vgpr0_vgpr1
	s_and_saveexec_b64 s[54:55], vcc
	s_xor_b64 s[54:55], exec, s[54:55]
	s_cbranch_execz .LBB2_612
; %bb.611:                              ;   in Loop: Header=BB2_22 Depth=1
	v_xad_u32 v0, v3, -1, s71
	v_ashrrev_i32_e32 v1, 31, v0
	v_lshlrev_b64 v[4:5], 2, v[0:1]
	v_mov_b32_e32 v3, s61
	v_add_co_u32_e32 v4, vcc, s60, v4
	v_addc_co_u32_e32 v5, vcc, v3, v5, vcc
	s_and_b64 s[58:59], s[44:45], exec
	s_and_b64 s[56:57], s[26:27], exec
	global_store_dword v[4:5], v2, off
.LBB2_612:                              ;   in Loop: Header=BB2_22 Depth=1
	s_or_b64 exec, exec, s[54:55]
	s_and_b64 s[58:59], s[58:59], exec
	s_and_b64 s[54:55], s[56:57], exec
.LBB2_613:                              ;   in Loop: Header=BB2_22 Depth=1
	s_or_b64 exec, exec, s[52:53]
	s_and_b64 s[52:53], s[58:59], exec
	s_and_b64 s[54:55], s[54:55], exec
	v_mov_b32_e32 v3, v49
                                        ; implicit-def: $vgpr2
	s_andn2_saveexec_b64 s[50:51], s[50:51]
	s_cbranch_execnz .LBB2_617
.LBB2_614:                              ;   in Loop: Header=BB2_22 Depth=1
	s_or_b64 exec, exec, s[50:51]
	s_and_saveexec_b64 s[50:51], s[54:55]
	s_cbranch_execz .LBB2_620
.LBB2_615:                              ;   in Loop: Header=BB2_22 Depth=1
	global_load_dword v3, v[16:17], off
	s_or_b64 s[52:53], s[52:53], exec
	s_or_b64 exec, exec, s[50:51]
	s_and_b64 exec, exec, s[52:53]
	s_cbranch_execnz .LBB2_621
	s_branch .LBB2_622
.LBB2_616:                              ;   in Loop: Header=BB2_22 Depth=1
	s_andn2_saveexec_b64 s[50:51], s[50:51]
	s_cbranch_execz .LBB2_614
.LBB2_617:                              ;   in Loop: Header=BB2_22 Depth=1
	s_mov_b64 s[58:59], exec
	v_mbcnt_lo_u32_b32 v0, s58, 0
	v_mbcnt_hi_u32_b32 v0, s59, v0
	v_cmp_eq_u32_e32 vcc, 0, v0
                                        ; implicit-def: $vgpr1
	s_and_saveexec_b64 s[56:57], vcc
	s_cbranch_execz .LBB2_619
; %bb.618:                              ;   in Loop: Header=BB2_22 Depth=1
	s_bcnt1_i32_b64 s40, s[58:59]
	v_mov_b32_e32 v1, s40
	global_atomic_add v1, v29, v1, s[24:25] offset:384 glc
.LBB2_619:                              ;   in Loop: Header=BB2_22 Depth=1
	s_or_b64 exec, exec, s[56:57]
	s_waitcnt vmcnt(0)
	v_readfirstlane_b32 s40, v1
	v_add_u32_e32 v0, s40, v0
	v_ashrrev_i32_e32 v1, 31, v0
	v_lshlrev_b64 v[4:5], 2, v[0:1]
	s_andn2_b64 s[52:53], s[52:53], exec
	s_and_b64 s[56:57], s[44:45], exec
	v_mov_b32_e32 v3, s61
	v_add_co_u32_e32 v4, vcc, s60, v4
	s_or_b64 s[52:53], s[52:53], s[56:57]
	s_andn2_b64 s[54:55], s[54:55], exec
	s_and_b64 s[56:57], s[26:27], exec
	v_addc_co_u32_e32 v5, vcc, v3, v5, vcc
	s_or_b64 s[54:55], s[54:55], s[56:57]
	v_mov_b32_e32 v3, v49
	global_store_dword v[4:5], v2, off
	s_or_b64 exec, exec, s[50:51]
	s_and_saveexec_b64 s[50:51], s[54:55]
	s_cbranch_execnz .LBB2_615
.LBB2_620:                              ;   in Loop: Header=BB2_22 Depth=1
	s_or_b64 exec, exec, s[50:51]
	s_and_b64 exec, exec, s[52:53]
	s_cbranch_execz .LBB2_622
.LBB2_621:                              ;   in Loop: Header=BB2_22 Depth=1
	v_lshlrev_b64 v[0:1], 2, v[0:1]
	v_mov_b32_e32 v2, s33
	v_add_co_u32_e32 v0, vcc, s21, v0
	v_addc_co_u32_e32 v1, vcc, v2, v1, vcc
	s_waitcnt vmcnt(0)
	global_store_dword v[0:1], v3, off
.LBB2_622:                              ;   in Loop: Header=BB2_22 Depth=1
	s_or_b64 exec, exec, s[6:7]
	s_and_saveexec_b64 s[6:7], s[0:1]
	s_cbranch_execz .LBB2_639
; %bb.623:                              ;   in Loop: Header=BB2_22 Depth=1
	global_load_dword v2, v[14:15], off
	s_mov_b64 s[54:55], 0
	s_mov_b64 s[52:53], 0
                                        ; implicit-def: $vgpr3
	s_waitcnt vmcnt(0)
	v_cmp_gt_i32_e32 vcc, 0, v2
	v_cndmask_b32_e64 v0, v57, 0, vcc
	v_xor_b32_e32 v4, v0, v2
	s_waitcnt lgkmcnt(0)
	v_cmp_ge_u32_e32 vcc, v4, v38
                                        ; implicit-def: $vgpr0_vgpr1
	s_and_saveexec_b64 s[50:51], vcc
	s_xor_b64 s[50:51], exec, s[50:51]
	s_cbranch_execz .LBB2_633
; %bb.624:                              ;   in Loop: Header=BB2_22 Depth=1
	v_cmp_eq_u32_e32 vcc, v4, v38
	s_mov_b64 s[58:59], 0
                                        ; implicit-def: $vgpr0_vgpr1
	s_and_saveexec_b64 s[52:53], vcc
	s_cbranch_execz .LBB2_630
; %bb.625:                              ;   in Loop: Header=BB2_22 Depth=1
	s_mov_b64 s[56:57], exec
	v_mbcnt_lo_u32_b32 v0, s56, 0
	v_mbcnt_hi_u32_b32 v0, s57, v0
	v_cmp_eq_u32_e32 vcc, 0, v0
                                        ; implicit-def: $vgpr1
	s_and_saveexec_b64 s[54:55], vcc
	s_cbranch_execz .LBB2_627
; %bb.626:                              ;   in Loop: Header=BB2_22 Depth=1
	s_bcnt1_i32_b64 s40, s[56:57]
	v_mov_b32_e32 v1, s40
	global_atomic_add v1, v29, v1, s[24:25] offset:512 glc
.LBB2_627:                              ;   in Loop: Header=BB2_22 Depth=1
	s_or_b64 exec, exec, s[54:55]
	s_waitcnt vmcnt(0)
	v_readfirstlane_b32 s40, v1
	v_add_u32_e32 v3, s40, v0
	v_cmp_lt_i32_e32 vcc, v3, v39
	s_mov_b64 s[56:57], 0
                                        ; implicit-def: $vgpr0_vgpr1
	s_and_saveexec_b64 s[54:55], vcc
	s_xor_b64 s[54:55], exec, s[54:55]
	s_cbranch_execz .LBB2_629
; %bb.628:                              ;   in Loop: Header=BB2_22 Depth=1
	v_xad_u32 v0, v3, -1, s71
	v_ashrrev_i32_e32 v1, 31, v0
	v_lshlrev_b64 v[4:5], 2, v[0:1]
	v_mov_b32_e32 v3, s61
	v_add_co_u32_e32 v4, vcc, s60, v4
	v_addc_co_u32_e32 v5, vcc, v3, v5, vcc
	s_and_b64 s[58:59], s[44:45], exec
	s_and_b64 s[56:57], s[26:27], exec
	global_store_dword v[4:5], v2, off
.LBB2_629:                              ;   in Loop: Header=BB2_22 Depth=1
	s_or_b64 exec, exec, s[54:55]
	s_and_b64 s[58:59], s[58:59], exec
	s_and_b64 s[54:55], s[56:57], exec
.LBB2_630:                              ;   in Loop: Header=BB2_22 Depth=1
	s_or_b64 exec, exec, s[52:53]
	s_and_b64 s[52:53], s[58:59], exec
	s_and_b64 s[54:55], s[54:55], exec
	v_mov_b32_e32 v3, v48
                                        ; implicit-def: $vgpr2
	s_andn2_saveexec_b64 s[50:51], s[50:51]
	s_cbranch_execnz .LBB2_634
.LBB2_631:                              ;   in Loop: Header=BB2_22 Depth=1
	s_or_b64 exec, exec, s[50:51]
	s_and_saveexec_b64 s[50:51], s[54:55]
	s_cbranch_execz .LBB2_637
.LBB2_632:                              ;   in Loop: Header=BB2_22 Depth=1
	global_load_dword v3, v[12:13], off
	s_or_b64 s[52:53], s[52:53], exec
	s_or_b64 exec, exec, s[50:51]
	s_and_b64 exec, exec, s[52:53]
	s_cbranch_execnz .LBB2_638
	s_branch .LBB2_639
.LBB2_633:                              ;   in Loop: Header=BB2_22 Depth=1
	s_andn2_saveexec_b64 s[50:51], s[50:51]
	s_cbranch_execz .LBB2_631
.LBB2_634:                              ;   in Loop: Header=BB2_22 Depth=1
	s_mov_b64 s[58:59], exec
	v_mbcnt_lo_u32_b32 v0, s58, 0
	v_mbcnt_hi_u32_b32 v0, s59, v0
	v_cmp_eq_u32_e32 vcc, 0, v0
                                        ; implicit-def: $vgpr1
	s_and_saveexec_b64 s[56:57], vcc
	s_cbranch_execz .LBB2_636
; %bb.635:                              ;   in Loop: Header=BB2_22 Depth=1
	s_bcnt1_i32_b64 s40, s[58:59]
	v_mov_b32_e32 v1, s40
	global_atomic_add v1, v29, v1, s[24:25] offset:384 glc
.LBB2_636:                              ;   in Loop: Header=BB2_22 Depth=1
	s_or_b64 exec, exec, s[56:57]
	s_waitcnt vmcnt(0)
	v_readfirstlane_b32 s40, v1
	v_add_u32_e32 v0, s40, v0
	v_ashrrev_i32_e32 v1, 31, v0
	v_lshlrev_b64 v[4:5], 2, v[0:1]
	s_andn2_b64 s[52:53], s[52:53], exec
	s_and_b64 s[56:57], s[44:45], exec
	v_mov_b32_e32 v3, s61
	v_add_co_u32_e32 v4, vcc, s60, v4
	s_or_b64 s[52:53], s[52:53], s[56:57]
	s_andn2_b64 s[54:55], s[54:55], exec
	s_and_b64 s[56:57], s[26:27], exec
	v_addc_co_u32_e32 v5, vcc, v3, v5, vcc
	s_or_b64 s[54:55], s[54:55], s[56:57]
	v_mov_b32_e32 v3, v48
	global_store_dword v[4:5], v2, off
	s_or_b64 exec, exec, s[50:51]
	s_and_saveexec_b64 s[50:51], s[54:55]
	s_cbranch_execnz .LBB2_632
.LBB2_637:                              ;   in Loop: Header=BB2_22 Depth=1
	s_or_b64 exec, exec, s[50:51]
	s_and_b64 exec, exec, s[52:53]
	s_cbranch_execz .LBB2_639
.LBB2_638:                              ;   in Loop: Header=BB2_22 Depth=1
	v_lshlrev_b64 v[0:1], 2, v[0:1]
	v_mov_b32_e32 v2, s33
	v_add_co_u32_e32 v0, vcc, s21, v0
	v_addc_co_u32_e32 v1, vcc, v2, v1, vcc
	s_waitcnt vmcnt(0)
	global_store_dword v[0:1], v3, off
.LBB2_639:                              ;   in Loop: Header=BB2_22 Depth=1
	s_or_b64 exec, exec, s[6:7]
.LBB2_640:                              ;   in Loop: Header=BB2_22 Depth=1
	s_add_i32 s90, s90, 1
	s_add_u32 s48, s48, 0x1000
	s_addc_u32 s49, s49, 0
	v_add_co_u32_e32 v36, vcc, 0x1000, v36
	s_cmp_eq_u32 s90, 4
	v_addc_co_u32_e32 v37, vcc, 0, v37, vcc
	s_mov_b64 s[6:7], -1
	s_cselect_b64 s[50:51], -1, 0
	s_branch .LBB2_21
.LBB2_641:
	s_andn2_b64 vcc, exec, s[6:7]
	s_cbranch_vccz .LBB2_823
; %bb.642:
	v_mov_b32_e32 v29, 0
	ds_read_b32 v28, v29 offset:8576
	s_add_i32 s16, s91, 32
	s_and_saveexec_b64 s[6:7], s[4:5]
	s_cbranch_execz .LBB2_774
; %bb.643:
	v_cndmask_b32_e64 v0, 0, 1, s[26:27]
	s_lshl_b32 s17, -1, s16
	s_mov_b64 s[8:9], 0
	v_mov_b32_e32 v30, s68
	v_mov_b32_e32 v31, s37
	v_bfrev_b32_e32 v32, -2
	v_cmp_ne_u32_e64 s[4:5], 1, v0
	s_branch .LBB2_647
.LBB2_644:                              ;   in Loop: Header=BB2_647 Depth=1
	s_waitcnt vmcnt(0)
	v_add3_u32 v2, v4, s20, 3
.LBB2_645:                              ;   in Loop: Header=BB2_647 Depth=1
	v_mov_b32_e32 v3, s33
	v_add_co_u32_e32 v0, vcc, s21, v0
	v_addc_co_u32_e32 v1, vcc, v3, v1, vcc
	s_waitcnt vmcnt(0)
	global_store_dword v[0:1], v2, off
.LBB2_646:                              ;   in Loop: Header=BB2_647 Depth=1
	s_or_b64 exec, exec, s[10:11]
	v_add_u32_e32 v20, s63, v20
	v_ashrrev_i32_e32 v21, 31, v20
	v_mov_b32_e32 v0, s69
	v_add_co_u32_e32 v22, vcc, s70, v20
	v_addc_co_u32_e32 v23, vcc, v0, v21, vcc
	v_cmp_le_u64_e32 vcc, s[30:31], v[22:23]
	s_or_b64 s[8:9], vcc, s[8:9]
	s_andn2_b64 exec, exec, s[8:9]
	s_cbranch_execz .LBB2_773
.LBB2_647:                              ; =>This Inner Loop Header: Depth=1
	v_lshlrev_b64 v[0:1], 4, v[20:21]
	v_add_co_u32_e32 v4, vcc, s62, v0
	s_waitcnt vmcnt(0)
	v_addc_co_u32_e32 v5, vcc, v30, v1, vcc
	global_load_dwordx4 v[0:3], v[4:5], off
	v_add_co_u32_e32 v8, vcc, s36, v4
	v_addc_co_u32_e32 v9, vcc, v5, v31, vcc
	global_load_dwordx4 v[4:7], v[8:9], off
	v_lshl_add_u32 v10, v20, 2, s34
	s_waitcnt vmcnt(1)
	v_cmp_gt_i32_e32 vcc, 0, v0
	v_cndmask_b32_e64 v11, v32, 0, vcc
	v_xor_b32_e32 v11, v11, v0
	v_and_b32_e32 v11, s17, v11
	s_waitcnt lgkmcnt(0)
	v_cmp_le_u32_e32 vcc, v11, v28
	s_and_saveexec_b64 s[10:11], vcc
	s_cbranch_execz .LBB2_655
; %bb.648:                              ;   in Loop: Header=BB2_647 Depth=1
	s_mov_b64 s[14:15], exec
	v_mbcnt_lo_u32_b32 v11, s14, 0
	v_mbcnt_hi_u32_b32 v11, s15, v11
	v_cmp_eq_u32_e32 vcc, 0, v11
                                        ; implicit-def: $vgpr21
	s_and_saveexec_b64 s[12:13], vcc
	s_cbranch_execz .LBB2_650
; %bb.649:                              ;   in Loop: Header=BB2_647 Depth=1
	s_bcnt1_i32_b64 s14, s[14:15]
	v_mov_b32_e32 v21, s14
	global_atomic_add v21, v29, v21, s[24:25] offset:384 glc
.LBB2_650:                              ;   in Loop: Header=BB2_647 Depth=1
	s_or_b64 exec, exec, s[12:13]
	s_waitcnt vmcnt(0)
	v_readfirstlane_b32 s12, v21
	v_add_u32_e32 v24, s12, v11
	v_ashrrev_i32_e32 v25, 31, v24
	v_lshlrev_b64 v[24:25], 2, v[24:25]
	v_mov_b32_e32 v11, s61
	v_add_co_u32_e32 v26, vcc, s60, v24
	v_addc_co_u32_e32 v27, vcc, v11, v25, vcc
	s_and_b64 vcc, exec, s[4:5]
	global_store_dword v[26:27], v0, off
	s_cbranch_vccnz .LBB2_652
; %bb.651:                              ;   in Loop: Header=BB2_647 Depth=1
	v_ashrrev_i32_e32 v11, 31, v10
	v_lshlrev_b64 v[26:27], 2, v[10:11]
	v_mov_b32_e32 v0, s23
	v_add_co_u32_e32 v26, vcc, s22, v26
	v_addc_co_u32_e32 v27, vcc, v0, v27, vcc
	global_load_dword v0, v[26:27], off
	s_cbranch_execz .LBB2_653
	s_branch .LBB2_654
.LBB2_652:                              ;   in Loop: Header=BB2_647 Depth=1
                                        ; implicit-def: $vgpr0
.LBB2_653:                              ;   in Loop: Header=BB2_647 Depth=1
	s_waitcnt vmcnt(0)
	v_add_u32_e32 v0, s20, v10
.LBB2_654:                              ;   in Loop: Header=BB2_647 Depth=1
	v_mov_b32_e32 v11, s33
	v_add_co_u32_e32 v24, vcc, s21, v24
	v_addc_co_u32_e32 v25, vcc, v11, v25, vcc
	s_waitcnt vmcnt(0)
	global_store_dword v[24:25], v0, off
.LBB2_655:                              ;   in Loop: Header=BB2_647 Depth=1
	s_or_b64 exec, exec, s[10:11]
	v_cmp_gt_i32_e32 vcc, 0, v1
	v_cndmask_b32_e64 v0, v32, 0, vcc
	v_xor_b32_e32 v0, v0, v1
	v_and_b32_e32 v0, s17, v0
	v_cmp_le_u32_e32 vcc, v0, v28
	s_and_saveexec_b64 s[10:11], vcc
	s_cbranch_execz .LBB2_663
; %bb.656:                              ;   in Loop: Header=BB2_647 Depth=1
	s_mov_b64 s[14:15], exec
	v_mbcnt_lo_u32_b32 v0, s14, 0
	v_mbcnt_hi_u32_b32 v0, s15, v0
	v_cmp_eq_u32_e32 vcc, 0, v0
                                        ; implicit-def: $vgpr11
	s_and_saveexec_b64 s[12:13], vcc
	s_cbranch_execz .LBB2_658
; %bb.657:                              ;   in Loop: Header=BB2_647 Depth=1
	s_bcnt1_i32_b64 s14, s[14:15]
	v_mov_b32_e32 v11, s14
	global_atomic_add v11, v29, v11, s[24:25] offset:384 glc
.LBB2_658:                              ;   in Loop: Header=BB2_647 Depth=1
	s_or_b64 exec, exec, s[12:13]
	s_waitcnt vmcnt(0)
	v_readfirstlane_b32 s12, v11
	v_add_u32_e32 v24, s12, v0
	v_ashrrev_i32_e32 v25, 31, v24
	v_lshlrev_b64 v[24:25], 2, v[24:25]
	v_mov_b32_e32 v0, s61
	v_add_co_u32_e32 v26, vcc, s60, v24
	v_addc_co_u32_e32 v27, vcc, v0, v25, vcc
	s_and_b64 vcc, exec, s[4:5]
	global_store_dword v[26:27], v1, off
	s_cbranch_vccnz .LBB2_660
; %bb.659:                              ;   in Loop: Header=BB2_647 Depth=1
	v_ashrrev_i32_e32 v11, 31, v10
	v_lshlrev_b64 v[0:1], 2, v[10:11]
	v_mov_b32_e32 v11, s35
	v_add_co_u32_e32 v0, vcc, s29, v0
	v_addc_co_u32_e32 v1, vcc, v11, v1, vcc
	global_load_dword v0, v[0:1], off
	s_cbranch_execz .LBB2_661
	s_branch .LBB2_662
.LBB2_660:                              ;   in Loop: Header=BB2_647 Depth=1
                                        ; implicit-def: $vgpr0
.LBB2_661:                              ;   in Loop: Header=BB2_647 Depth=1
	s_waitcnt vmcnt(0)
	v_add3_u32 v0, v10, s20, 1
.LBB2_662:                              ;   in Loop: Header=BB2_647 Depth=1
	v_mov_b32_e32 v1, s33
	v_add_co_u32_e32 v24, vcc, s21, v24
	v_addc_co_u32_e32 v25, vcc, v1, v25, vcc
	s_waitcnt vmcnt(0)
	global_store_dword v[24:25], v0, off
.LBB2_663:                              ;   in Loop: Header=BB2_647 Depth=1
	s_or_b64 exec, exec, s[10:11]
	v_cmp_gt_i32_e32 vcc, 0, v2
	v_cndmask_b32_e64 v0, v32, 0, vcc
	v_xor_b32_e32 v0, v0, v2
	v_and_b32_e32 v0, s17, v0
	v_cmp_le_u32_e32 vcc, v0, v28
	s_and_saveexec_b64 s[10:11], vcc
	s_cbranch_execz .LBB2_671
; %bb.664:                              ;   in Loop: Header=BB2_647 Depth=1
	s_mov_b64 s[14:15], exec
	v_mbcnt_lo_u32_b32 v0, s14, 0
	v_mbcnt_hi_u32_b32 v0, s15, v0
	v_cmp_eq_u32_e32 vcc, 0, v0
                                        ; implicit-def: $vgpr1
	s_and_saveexec_b64 s[12:13], vcc
	s_cbranch_execz .LBB2_666
; %bb.665:                              ;   in Loop: Header=BB2_647 Depth=1
	s_bcnt1_i32_b64 s14, s[14:15]
	v_mov_b32_e32 v1, s14
	global_atomic_add v1, v29, v1, s[24:25] offset:384 glc
.LBB2_666:                              ;   in Loop: Header=BB2_647 Depth=1
	s_or_b64 exec, exec, s[12:13]
	s_waitcnt vmcnt(0)
	v_readfirstlane_b32 s12, v1
	v_add_u32_e32 v0, s12, v0
	v_ashrrev_i32_e32 v1, 31, v0
	v_lshlrev_b64 v[0:1], 2, v[0:1]
	v_mov_b32_e32 v11, s61
	v_add_co_u32_e32 v24, vcc, s60, v0
	v_addc_co_u32_e32 v25, vcc, v11, v1, vcc
	s_and_b64 vcc, exec, s[4:5]
	global_store_dword v[24:25], v2, off
	s_cbranch_vccnz .LBB2_668
; %bb.667:                              ;   in Loop: Header=BB2_647 Depth=1
	v_ashrrev_i32_e32 v11, 31, v10
	v_lshlrev_b64 v[24:25], 2, v[10:11]
	v_mov_b32_e32 v2, s65
	v_add_co_u32_e32 v24, vcc, s64, v24
	v_addc_co_u32_e32 v25, vcc, v2, v25, vcc
	global_load_dword v2, v[24:25], off
	s_cbranch_execz .LBB2_669
	s_branch .LBB2_670
.LBB2_668:                              ;   in Loop: Header=BB2_647 Depth=1
                                        ; implicit-def: $vgpr2
.LBB2_669:                              ;   in Loop: Header=BB2_647 Depth=1
	s_waitcnt vmcnt(0)
	v_add3_u32 v2, v10, s20, 2
.LBB2_670:                              ;   in Loop: Header=BB2_647 Depth=1
	v_mov_b32_e32 v11, s33
	v_add_co_u32_e32 v0, vcc, s21, v0
	v_addc_co_u32_e32 v1, vcc, v11, v1, vcc
	s_waitcnt vmcnt(0)
	global_store_dword v[0:1], v2, off
.LBB2_671:                              ;   in Loop: Header=BB2_647 Depth=1
	s_or_b64 exec, exec, s[10:11]
	v_cmp_gt_i32_e32 vcc, 0, v3
	v_cndmask_b32_e64 v0, v32, 0, vcc
	v_xor_b32_e32 v0, v0, v3
	v_and_b32_e32 v0, s17, v0
	v_cmp_le_u32_e32 vcc, v0, v28
	s_and_saveexec_b64 s[10:11], vcc
	s_cbranch_execz .LBB2_679
; %bb.672:                              ;   in Loop: Header=BB2_647 Depth=1
	s_mov_b64 s[14:15], exec
	v_mbcnt_lo_u32_b32 v0, s14, 0
	v_mbcnt_hi_u32_b32 v0, s15, v0
	v_cmp_eq_u32_e32 vcc, 0, v0
                                        ; implicit-def: $vgpr1
	s_and_saveexec_b64 s[12:13], vcc
	s_cbranch_execz .LBB2_674
; %bb.673:                              ;   in Loop: Header=BB2_647 Depth=1
	s_bcnt1_i32_b64 s14, s[14:15]
	v_mov_b32_e32 v1, s14
	global_atomic_add v1, v29, v1, s[24:25] offset:384 glc
.LBB2_674:                              ;   in Loop: Header=BB2_647 Depth=1
	s_or_b64 exec, exec, s[12:13]
	s_waitcnt vmcnt(0)
	v_readfirstlane_b32 s12, v1
	v_add_u32_e32 v0, s12, v0
	v_ashrrev_i32_e32 v1, 31, v0
	v_lshlrev_b64 v[0:1], 2, v[0:1]
	v_mov_b32_e32 v2, s61
	v_add_co_u32_e32 v24, vcc, s60, v0
	v_addc_co_u32_e32 v25, vcc, v2, v1, vcc
	s_and_b64 vcc, exec, s[4:5]
	global_store_dword v[24:25], v3, off
	s_cbranch_vccnz .LBB2_676
; %bb.675:                              ;   in Loop: Header=BB2_647 Depth=1
	v_ashrrev_i32_e32 v11, 31, v10
	v_lshlrev_b64 v[2:3], 2, v[10:11]
	v_mov_b32_e32 v11, s67
	v_add_co_u32_e32 v2, vcc, s66, v2
	v_addc_co_u32_e32 v3, vcc, v11, v3, vcc
	global_load_dword v2, v[2:3], off
	s_cbranch_execz .LBB2_677
	s_branch .LBB2_678
.LBB2_676:                              ;   in Loop: Header=BB2_647 Depth=1
                                        ; implicit-def: $vgpr2
.LBB2_677:                              ;   in Loop: Header=BB2_647 Depth=1
	s_waitcnt vmcnt(0)
	v_add3_u32 v2, v10, s20, 3
.LBB2_678:                              ;   in Loop: Header=BB2_647 Depth=1
	v_mov_b32_e32 v3, s33
	v_add_co_u32_e32 v0, vcc, s21, v0
	v_addc_co_u32_e32 v1, vcc, v3, v1, vcc
	s_waitcnt vmcnt(0)
	global_store_dword v[0:1], v2, off
.LBB2_679:                              ;   in Loop: Header=BB2_647 Depth=1
	s_or_b64 exec, exec, s[10:11]
	v_mov_b32_e32 v0, s37
	v_add_co_u32_e32 v24, vcc, s36, v8
	v_addc_co_u32_e32 v25, vcc, v9, v0, vcc
	v_lshlrev_b64 v[0:1], 4, v[22:23]
	v_mov_b32_e32 v2, s68
	v_add_co_u32_e32 v26, vcc, s62, v0
	v_addc_co_u32_e32 v27, vcc, v2, v1, vcc
	global_load_dwordx4 v[8:11], v[24:25], off
	global_load_dwordx4 v[0:3], v[26:27], off
	v_add_co_u32_e32 v21, vcc, s28, v20
	s_waitcnt vmcnt(2)
	v_cmp_gt_i32_e32 vcc, 0, v4
	v_cndmask_b32_e64 v23, v32, 0, vcc
	v_xor_b32_e32 v23, v23, v4
	v_and_b32_e32 v23, s17, v23
	v_lshl_add_u32 v24, v21, 2, s34
	v_cmp_le_u32_e32 vcc, v23, v28
	s_and_saveexec_b64 s[10:11], vcc
	s_cbranch_execz .LBB2_687
; %bb.680:                              ;   in Loop: Header=BB2_647 Depth=1
	s_mov_b64 s[14:15], exec
	v_mbcnt_lo_u32_b32 v23, s14, 0
	v_mbcnt_hi_u32_b32 v23, s15, v23
	v_cmp_eq_u32_e32 vcc, 0, v23
                                        ; implicit-def: $vgpr25
	s_and_saveexec_b64 s[12:13], vcc
	s_cbranch_execz .LBB2_682
; %bb.681:                              ;   in Loop: Header=BB2_647 Depth=1
	s_bcnt1_i32_b64 s14, s[14:15]
	v_mov_b32_e32 v25, s14
	global_atomic_add v25, v29, v25, s[24:25] offset:384 glc
.LBB2_682:                              ;   in Loop: Header=BB2_647 Depth=1
	s_or_b64 exec, exec, s[12:13]
	s_waitcnt vmcnt(0)
	v_readfirstlane_b32 s12, v25
	v_add_u32_e32 v26, s12, v23
	v_ashrrev_i32_e32 v27, 31, v26
	v_lshlrev_b64 v[26:27], 2, v[26:27]
	v_mov_b32_e32 v23, s61
	v_add_co_u32_e32 v34, vcc, s60, v26
	v_addc_co_u32_e32 v35, vcc, v23, v27, vcc
	s_and_b64 vcc, exec, s[4:5]
	global_store_dword v[34:35], v4, off
	s_cbranch_vccnz .LBB2_684
; %bb.683:                              ;   in Loop: Header=BB2_647 Depth=1
	v_ashrrev_i32_e32 v25, 31, v24
	v_lshlrev_b64 v[34:35], 2, v[24:25]
	v_mov_b32_e32 v4, s23
	v_add_co_u32_e32 v34, vcc, s22, v34
	v_addc_co_u32_e32 v35, vcc, v4, v35, vcc
	global_load_dword v4, v[34:35], off
	s_cbranch_execz .LBB2_685
	s_branch .LBB2_686
.LBB2_684:                              ;   in Loop: Header=BB2_647 Depth=1
                                        ; implicit-def: $vgpr4
.LBB2_685:                              ;   in Loop: Header=BB2_647 Depth=1
	s_waitcnt vmcnt(0)
	v_add_u32_e32 v4, s20, v24
.LBB2_686:                              ;   in Loop: Header=BB2_647 Depth=1
	v_mov_b32_e32 v23, s33
	v_add_co_u32_e32 v26, vcc, s21, v26
	v_addc_co_u32_e32 v27, vcc, v23, v27, vcc
	s_waitcnt vmcnt(0)
	global_store_dword v[26:27], v4, off
.LBB2_687:                              ;   in Loop: Header=BB2_647 Depth=1
	s_or_b64 exec, exec, s[10:11]
	v_cmp_gt_i32_e32 vcc, 0, v5
	v_cndmask_b32_e64 v4, v32, 0, vcc
	v_xor_b32_e32 v4, v4, v5
	v_and_b32_e32 v4, s17, v4
	v_cmp_le_u32_e32 vcc, v4, v28
	s_and_saveexec_b64 s[10:11], vcc
	s_cbranch_execz .LBB2_695
; %bb.688:                              ;   in Loop: Header=BB2_647 Depth=1
	s_mov_b64 s[14:15], exec
	v_mbcnt_lo_u32_b32 v4, s14, 0
	v_mbcnt_hi_u32_b32 v4, s15, v4
	v_cmp_eq_u32_e32 vcc, 0, v4
                                        ; implicit-def: $vgpr23
	s_and_saveexec_b64 s[12:13], vcc
	s_cbranch_execz .LBB2_690
; %bb.689:                              ;   in Loop: Header=BB2_647 Depth=1
	s_bcnt1_i32_b64 s14, s[14:15]
	v_mov_b32_e32 v23, s14
	global_atomic_add v23, v29, v23, s[24:25] offset:384 glc
.LBB2_690:                              ;   in Loop: Header=BB2_647 Depth=1
	s_or_b64 exec, exec, s[12:13]
	s_waitcnt vmcnt(0)
	v_readfirstlane_b32 s12, v23
	v_add_u32_e32 v26, s12, v4
	v_ashrrev_i32_e32 v27, 31, v26
	v_lshlrev_b64 v[26:27], 2, v[26:27]
	v_mov_b32_e32 v4, s61
	v_add_co_u32_e32 v34, vcc, s60, v26
	v_addc_co_u32_e32 v35, vcc, v4, v27, vcc
	s_and_b64 vcc, exec, s[4:5]
	global_store_dword v[34:35], v5, off
	s_cbranch_vccnz .LBB2_692
; %bb.691:                              ;   in Loop: Header=BB2_647 Depth=1
	v_ashrrev_i32_e32 v25, 31, v24
	v_lshlrev_b64 v[4:5], 2, v[24:25]
	v_mov_b32_e32 v23, s35
	v_add_co_u32_e32 v4, vcc, s29, v4
	v_addc_co_u32_e32 v5, vcc, v23, v5, vcc
	global_load_dword v4, v[4:5], off
	s_cbranch_execz .LBB2_693
	s_branch .LBB2_694
.LBB2_692:                              ;   in Loop: Header=BB2_647 Depth=1
                                        ; implicit-def: $vgpr4
.LBB2_693:                              ;   in Loop: Header=BB2_647 Depth=1
	s_waitcnt vmcnt(0)
	v_add3_u32 v4, v24, s20, 1
.LBB2_694:                              ;   in Loop: Header=BB2_647 Depth=1
	v_mov_b32_e32 v5, s33
	v_add_co_u32_e32 v26, vcc, s21, v26
	v_addc_co_u32_e32 v27, vcc, v5, v27, vcc
	s_waitcnt vmcnt(0)
	global_store_dword v[26:27], v4, off
.LBB2_695:                              ;   in Loop: Header=BB2_647 Depth=1
	s_or_b64 exec, exec, s[10:11]
	v_cmp_gt_i32_e32 vcc, 0, v6
	v_cndmask_b32_e64 v4, v32, 0, vcc
	v_xor_b32_e32 v4, v4, v6
	v_and_b32_e32 v4, s17, v4
	v_cmp_le_u32_e32 vcc, v4, v28
	s_and_saveexec_b64 s[10:11], vcc
	s_cbranch_execz .LBB2_703
; %bb.696:                              ;   in Loop: Header=BB2_647 Depth=1
	s_mov_b64 s[14:15], exec
	v_mbcnt_lo_u32_b32 v4, s14, 0
	v_mbcnt_hi_u32_b32 v4, s15, v4
	v_cmp_eq_u32_e32 vcc, 0, v4
                                        ; implicit-def: $vgpr5
	s_and_saveexec_b64 s[12:13], vcc
	s_cbranch_execz .LBB2_698
; %bb.697:                              ;   in Loop: Header=BB2_647 Depth=1
	s_bcnt1_i32_b64 s14, s[14:15]
	v_mov_b32_e32 v5, s14
	global_atomic_add v5, v29, v5, s[24:25] offset:384 glc
.LBB2_698:                              ;   in Loop: Header=BB2_647 Depth=1
	s_or_b64 exec, exec, s[12:13]
	s_waitcnt vmcnt(0)
	v_readfirstlane_b32 s12, v5
	v_add_u32_e32 v4, s12, v4
	v_ashrrev_i32_e32 v5, 31, v4
	v_lshlrev_b64 v[4:5], 2, v[4:5]
	v_mov_b32_e32 v23, s61
	v_add_co_u32_e32 v26, vcc, s60, v4
	v_addc_co_u32_e32 v27, vcc, v23, v5, vcc
	s_and_b64 vcc, exec, s[4:5]
	global_store_dword v[26:27], v6, off
	s_cbranch_vccnz .LBB2_700
; %bb.699:                              ;   in Loop: Header=BB2_647 Depth=1
	v_ashrrev_i32_e32 v25, 31, v24
	v_lshlrev_b64 v[26:27], 2, v[24:25]
	v_mov_b32_e32 v6, s65
	v_add_co_u32_e32 v26, vcc, s64, v26
	v_addc_co_u32_e32 v27, vcc, v6, v27, vcc
	global_load_dword v6, v[26:27], off
	s_cbranch_execz .LBB2_701
	s_branch .LBB2_702
.LBB2_700:                              ;   in Loop: Header=BB2_647 Depth=1
                                        ; implicit-def: $vgpr6
.LBB2_701:                              ;   in Loop: Header=BB2_647 Depth=1
	s_waitcnt vmcnt(0)
	v_add3_u32 v6, v24, s20, 2
.LBB2_702:                              ;   in Loop: Header=BB2_647 Depth=1
	v_mov_b32_e32 v23, s33
	v_add_co_u32_e32 v4, vcc, s21, v4
	v_addc_co_u32_e32 v5, vcc, v23, v5, vcc
	s_waitcnt vmcnt(0)
	global_store_dword v[4:5], v6, off
.LBB2_703:                              ;   in Loop: Header=BB2_647 Depth=1
	s_or_b64 exec, exec, s[10:11]
	v_cmp_gt_i32_e32 vcc, 0, v7
	v_cndmask_b32_e64 v4, v32, 0, vcc
	v_xor_b32_e32 v4, v4, v7
	v_and_b32_e32 v4, s17, v4
	v_cmp_le_u32_e32 vcc, v4, v28
	s_and_saveexec_b64 s[10:11], vcc
	s_cbranch_execz .LBB2_711
; %bb.704:                              ;   in Loop: Header=BB2_647 Depth=1
	s_mov_b64 s[14:15], exec
	v_mbcnt_lo_u32_b32 v4, s14, 0
	v_mbcnt_hi_u32_b32 v4, s15, v4
	v_cmp_eq_u32_e32 vcc, 0, v4
                                        ; implicit-def: $vgpr5
	s_and_saveexec_b64 s[12:13], vcc
	s_cbranch_execz .LBB2_706
; %bb.705:                              ;   in Loop: Header=BB2_647 Depth=1
	s_bcnt1_i32_b64 s14, s[14:15]
	v_mov_b32_e32 v5, s14
	global_atomic_add v5, v29, v5, s[24:25] offset:384 glc
.LBB2_706:                              ;   in Loop: Header=BB2_647 Depth=1
	s_or_b64 exec, exec, s[12:13]
	s_waitcnt vmcnt(0)
	v_readfirstlane_b32 s12, v5
	v_add_u32_e32 v4, s12, v4
	v_ashrrev_i32_e32 v5, 31, v4
	v_lshlrev_b64 v[4:5], 2, v[4:5]
	v_mov_b32_e32 v6, s61
	v_add_co_u32_e32 v26, vcc, s60, v4
	v_addc_co_u32_e32 v27, vcc, v6, v5, vcc
	s_and_b64 vcc, exec, s[4:5]
	global_store_dword v[26:27], v7, off
	s_cbranch_vccnz .LBB2_708
; %bb.707:                              ;   in Loop: Header=BB2_647 Depth=1
	v_ashrrev_i32_e32 v25, 31, v24
	v_lshlrev_b64 v[6:7], 2, v[24:25]
	v_mov_b32_e32 v23, s67
	v_add_co_u32_e32 v6, vcc, s66, v6
	v_addc_co_u32_e32 v7, vcc, v23, v7, vcc
	global_load_dword v6, v[6:7], off
	s_cbranch_execz .LBB2_709
	s_branch .LBB2_710
.LBB2_708:                              ;   in Loop: Header=BB2_647 Depth=1
                                        ; implicit-def: $vgpr6
.LBB2_709:                              ;   in Loop: Header=BB2_647 Depth=1
	s_waitcnt vmcnt(0)
	v_add3_u32 v6, v24, s20, 3
.LBB2_710:                              ;   in Loop: Header=BB2_647 Depth=1
	v_mov_b32_e32 v7, s33
	v_add_co_u32_e32 v4, vcc, s21, v4
	v_addc_co_u32_e32 v5, vcc, v7, v5, vcc
	s_waitcnt vmcnt(0)
	global_store_dword v[4:5], v6, off
.LBB2_711:                              ;   in Loop: Header=BB2_647 Depth=1
	s_or_b64 exec, exec, s[10:11]
	s_waitcnt vmcnt(1)
	v_cmp_gt_i32_e32 vcc, 0, v8
	v_cndmask_b32_e64 v5, v32, 0, vcc
	v_xor_b32_e32 v5, v5, v8
	v_add_u32_e32 v4, s28, v21
	v_and_b32_e32 v5, s17, v5
	v_lshl_add_u32 v4, v4, 2, s34
	v_cmp_le_u32_e32 vcc, v5, v28
	s_and_saveexec_b64 s[10:11], vcc
	s_cbranch_execz .LBB2_719
; %bb.712:                              ;   in Loop: Header=BB2_647 Depth=1
	s_mov_b64 s[14:15], exec
	v_mbcnt_lo_u32_b32 v5, s14, 0
	v_mbcnt_hi_u32_b32 v5, s15, v5
	v_cmp_eq_u32_e32 vcc, 0, v5
                                        ; implicit-def: $vgpr6
	s_and_saveexec_b64 s[12:13], vcc
	s_cbranch_execz .LBB2_714
; %bb.713:                              ;   in Loop: Header=BB2_647 Depth=1
	s_bcnt1_i32_b64 s14, s[14:15]
	v_mov_b32_e32 v6, s14
	global_atomic_add v6, v29, v6, s[24:25] offset:384 glc
.LBB2_714:                              ;   in Loop: Header=BB2_647 Depth=1
	s_or_b64 exec, exec, s[12:13]
	s_waitcnt vmcnt(0)
	v_readfirstlane_b32 s12, v6
	v_add_u32_e32 v6, s12, v5
	v_ashrrev_i32_e32 v7, 31, v6
	v_lshlrev_b64 v[6:7], 2, v[6:7]
	v_mov_b32_e32 v5, s61
	v_add_co_u32_e32 v24, vcc, s60, v6
	v_addc_co_u32_e32 v25, vcc, v5, v7, vcc
	s_and_b64 vcc, exec, s[4:5]
	global_store_dword v[24:25], v8, off
	s_cbranch_vccnz .LBB2_716
; %bb.715:                              ;   in Loop: Header=BB2_647 Depth=1
	v_ashrrev_i32_e32 v5, 31, v4
	v_lshlrev_b64 v[24:25], 2, v[4:5]
	v_mov_b32_e32 v5, s23
	v_add_co_u32_e32 v24, vcc, s22, v24
	v_addc_co_u32_e32 v25, vcc, v5, v25, vcc
	global_load_dword v5, v[24:25], off
	s_cbranch_execz .LBB2_717
	s_branch .LBB2_718
.LBB2_716:                              ;   in Loop: Header=BB2_647 Depth=1
                                        ; implicit-def: $vgpr5
.LBB2_717:                              ;   in Loop: Header=BB2_647 Depth=1
	s_waitcnt vmcnt(0)
	v_add_u32_e32 v5, s20, v4
.LBB2_718:                              ;   in Loop: Header=BB2_647 Depth=1
	v_mov_b32_e32 v8, s33
	v_add_co_u32_e32 v6, vcc, s21, v6
	v_addc_co_u32_e32 v7, vcc, v8, v7, vcc
	s_waitcnt vmcnt(0)
	global_store_dword v[6:7], v5, off
.LBB2_719:                              ;   in Loop: Header=BB2_647 Depth=1
	s_or_b64 exec, exec, s[10:11]
	v_cmp_gt_i32_e32 vcc, 0, v9
	v_cndmask_b32_e64 v5, v32, 0, vcc
	v_xor_b32_e32 v5, v5, v9
	v_and_b32_e32 v5, s17, v5
	v_cmp_le_u32_e32 vcc, v5, v28
	s_and_saveexec_b64 s[10:11], vcc
	s_cbranch_execz .LBB2_727
; %bb.720:                              ;   in Loop: Header=BB2_647 Depth=1
	s_mov_b64 s[14:15], exec
	v_mbcnt_lo_u32_b32 v5, s14, 0
	v_mbcnt_hi_u32_b32 v5, s15, v5
	v_cmp_eq_u32_e32 vcc, 0, v5
                                        ; implicit-def: $vgpr6
	s_and_saveexec_b64 s[12:13], vcc
	s_cbranch_execz .LBB2_722
; %bb.721:                              ;   in Loop: Header=BB2_647 Depth=1
	s_bcnt1_i32_b64 s14, s[14:15]
	v_mov_b32_e32 v6, s14
	global_atomic_add v6, v29, v6, s[24:25] offset:384 glc
.LBB2_722:                              ;   in Loop: Header=BB2_647 Depth=1
	s_or_b64 exec, exec, s[12:13]
	s_waitcnt vmcnt(0)
	v_readfirstlane_b32 s12, v6
	v_add_u32_e32 v6, s12, v5
	v_ashrrev_i32_e32 v7, 31, v6
	v_lshlrev_b64 v[6:7], 2, v[6:7]
	v_mov_b32_e32 v5, s61
	v_add_co_u32_e32 v24, vcc, s60, v6
	v_addc_co_u32_e32 v25, vcc, v5, v7, vcc
	s_and_b64 vcc, exec, s[4:5]
	global_store_dword v[24:25], v9, off
	s_cbranch_vccnz .LBB2_724
; %bb.723:                              ;   in Loop: Header=BB2_647 Depth=1
	v_ashrrev_i32_e32 v5, 31, v4
	v_lshlrev_b64 v[8:9], 2, v[4:5]
	v_mov_b32_e32 v5, s35
	v_add_co_u32_e32 v8, vcc, s29, v8
	v_addc_co_u32_e32 v9, vcc, v5, v9, vcc
	global_load_dword v5, v[8:9], off
	s_cbranch_execz .LBB2_725
	s_branch .LBB2_726
.LBB2_724:                              ;   in Loop: Header=BB2_647 Depth=1
                                        ; implicit-def: $vgpr5
.LBB2_725:                              ;   in Loop: Header=BB2_647 Depth=1
	s_waitcnt vmcnt(0)
	v_add3_u32 v5, v4, s20, 1
.LBB2_726:                              ;   in Loop: Header=BB2_647 Depth=1
	v_mov_b32_e32 v8, s33
	v_add_co_u32_e32 v6, vcc, s21, v6
	v_addc_co_u32_e32 v7, vcc, v8, v7, vcc
	s_waitcnt vmcnt(0)
	global_store_dword v[6:7], v5, off
.LBB2_727:                              ;   in Loop: Header=BB2_647 Depth=1
	s_or_b64 exec, exec, s[10:11]
	v_cmp_gt_i32_e32 vcc, 0, v10
	v_cndmask_b32_e64 v5, v32, 0, vcc
	v_xor_b32_e32 v5, v5, v10
	v_and_b32_e32 v5, s17, v5
	v_cmp_le_u32_e32 vcc, v5, v28
	s_and_saveexec_b64 s[10:11], vcc
	s_cbranch_execz .LBB2_735
; %bb.728:                              ;   in Loop: Header=BB2_647 Depth=1
	s_mov_b64 s[14:15], exec
	v_mbcnt_lo_u32_b32 v5, s14, 0
	v_mbcnt_hi_u32_b32 v5, s15, v5
	v_cmp_eq_u32_e32 vcc, 0, v5
                                        ; implicit-def: $vgpr6
	s_and_saveexec_b64 s[12:13], vcc
	s_cbranch_execz .LBB2_730
; %bb.729:                              ;   in Loop: Header=BB2_647 Depth=1
	s_bcnt1_i32_b64 s14, s[14:15]
	v_mov_b32_e32 v6, s14
	global_atomic_add v6, v29, v6, s[24:25] offset:384 glc
.LBB2_730:                              ;   in Loop: Header=BB2_647 Depth=1
	s_or_b64 exec, exec, s[12:13]
	s_waitcnt vmcnt(0)
	v_readfirstlane_b32 s12, v6
	v_add_u32_e32 v6, s12, v5
	v_ashrrev_i32_e32 v7, 31, v6
	v_lshlrev_b64 v[6:7], 2, v[6:7]
	v_mov_b32_e32 v5, s61
	v_add_co_u32_e32 v8, vcc, s60, v6
	v_addc_co_u32_e32 v9, vcc, v5, v7, vcc
	s_and_b64 vcc, exec, s[4:5]
	global_store_dword v[8:9], v10, off
	s_cbranch_vccnz .LBB2_732
; %bb.731:                              ;   in Loop: Header=BB2_647 Depth=1
	v_ashrrev_i32_e32 v5, 31, v4
	v_lshlrev_b64 v[8:9], 2, v[4:5]
	v_mov_b32_e32 v5, s65
	v_add_co_u32_e32 v8, vcc, s64, v8
	v_addc_co_u32_e32 v9, vcc, v5, v9, vcc
	global_load_dword v5, v[8:9], off
	s_cbranch_execz .LBB2_733
	s_branch .LBB2_734
.LBB2_732:                              ;   in Loop: Header=BB2_647 Depth=1
                                        ; implicit-def: $vgpr5
.LBB2_733:                              ;   in Loop: Header=BB2_647 Depth=1
	s_waitcnt vmcnt(0)
	v_add3_u32 v5, v4, s20, 2
.LBB2_734:                              ;   in Loop: Header=BB2_647 Depth=1
	v_mov_b32_e32 v8, s33
	v_add_co_u32_e32 v6, vcc, s21, v6
	v_addc_co_u32_e32 v7, vcc, v8, v7, vcc
	s_waitcnt vmcnt(0)
	global_store_dword v[6:7], v5, off
.LBB2_735:                              ;   in Loop: Header=BB2_647 Depth=1
	;; [unrolled: 54-line block ×3, first 2 shown]
	s_or_b64 exec, exec, s[10:11]
	s_waitcnt vmcnt(0)
	v_cmp_gt_i32_e32 vcc, 0, v0
	v_cndmask_b32_e64 v5, v32, 0, vcc
	v_xor_b32_e32 v5, v5, v0
	v_and_b32_e32 v5, s17, v5
	v_lshl_add_u32 v4, v22, 2, s34
	v_cmp_le_u32_e32 vcc, v5, v28
	s_and_saveexec_b64 s[10:11], vcc
	s_cbranch_execz .LBB2_751
; %bb.744:                              ;   in Loop: Header=BB2_647 Depth=1
	s_mov_b64 s[14:15], exec
	v_mbcnt_lo_u32_b32 v5, s14, 0
	v_mbcnt_hi_u32_b32 v5, s15, v5
	v_cmp_eq_u32_e32 vcc, 0, v5
                                        ; implicit-def: $vgpr6
	s_and_saveexec_b64 s[12:13], vcc
	s_cbranch_execz .LBB2_746
; %bb.745:                              ;   in Loop: Header=BB2_647 Depth=1
	s_bcnt1_i32_b64 s14, s[14:15]
	v_mov_b32_e32 v6, s14
	global_atomic_add v6, v29, v6, s[24:25] offset:384 glc
.LBB2_746:                              ;   in Loop: Header=BB2_647 Depth=1
	s_or_b64 exec, exec, s[12:13]
	s_waitcnt vmcnt(0)
	v_readfirstlane_b32 s12, v6
	v_add_u32_e32 v6, s12, v5
	v_ashrrev_i32_e32 v7, 31, v6
	v_lshlrev_b64 v[6:7], 2, v[6:7]
	v_mov_b32_e32 v5, s61
	v_add_co_u32_e32 v8, vcc, s60, v6
	v_addc_co_u32_e32 v9, vcc, v5, v7, vcc
	s_and_b64 vcc, exec, s[4:5]
	global_store_dword v[8:9], v0, off
	s_cbranch_vccnz .LBB2_748
; %bb.747:                              ;   in Loop: Header=BB2_647 Depth=1
	v_ashrrev_i32_e32 v5, 31, v4
	v_lshlrev_b64 v[8:9], 2, v[4:5]
	v_mov_b32_e32 v0, s23
	v_add_co_u32_e32 v8, vcc, s22, v8
	v_addc_co_u32_e32 v9, vcc, v0, v9, vcc
	global_load_dword v0, v[8:9], off
	s_cbranch_execz .LBB2_749
	s_branch .LBB2_750
.LBB2_748:                              ;   in Loop: Header=BB2_647 Depth=1
                                        ; implicit-def: $vgpr0
.LBB2_749:                              ;   in Loop: Header=BB2_647 Depth=1
	s_waitcnt vmcnt(0)
	v_add_u32_e32 v0, s20, v4
.LBB2_750:                              ;   in Loop: Header=BB2_647 Depth=1
	v_mov_b32_e32 v5, s33
	v_add_co_u32_e32 v6, vcc, s21, v6
	v_addc_co_u32_e32 v7, vcc, v5, v7, vcc
	s_waitcnt vmcnt(0)
	global_store_dword v[6:7], v0, off
.LBB2_751:                              ;   in Loop: Header=BB2_647 Depth=1
	s_or_b64 exec, exec, s[10:11]
	v_cmp_gt_i32_e32 vcc, 0, v1
	v_cndmask_b32_e64 v0, v32, 0, vcc
	v_xor_b32_e32 v0, v0, v1
	v_and_b32_e32 v0, s17, v0
	v_cmp_le_u32_e32 vcc, v0, v28
	s_and_saveexec_b64 s[10:11], vcc
	s_cbranch_execz .LBB2_759
; %bb.752:                              ;   in Loop: Header=BB2_647 Depth=1
	s_mov_b64 s[14:15], exec
	v_mbcnt_lo_u32_b32 v0, s14, 0
	v_mbcnt_hi_u32_b32 v0, s15, v0
	v_cmp_eq_u32_e32 vcc, 0, v0
                                        ; implicit-def: $vgpr5
	s_and_saveexec_b64 s[12:13], vcc
	s_cbranch_execz .LBB2_754
; %bb.753:                              ;   in Loop: Header=BB2_647 Depth=1
	s_bcnt1_i32_b64 s14, s[14:15]
	v_mov_b32_e32 v5, s14
	global_atomic_add v5, v29, v5, s[24:25] offset:384 glc
.LBB2_754:                              ;   in Loop: Header=BB2_647 Depth=1
	s_or_b64 exec, exec, s[12:13]
	s_waitcnt vmcnt(0)
	v_readfirstlane_b32 s12, v5
	v_add_u32_e32 v6, s12, v0
	v_ashrrev_i32_e32 v7, 31, v6
	v_lshlrev_b64 v[6:7], 2, v[6:7]
	v_mov_b32_e32 v0, s61
	v_add_co_u32_e32 v8, vcc, s60, v6
	v_addc_co_u32_e32 v9, vcc, v0, v7, vcc
	s_and_b64 vcc, exec, s[4:5]
	global_store_dword v[8:9], v1, off
	s_cbranch_vccnz .LBB2_756
; %bb.755:                              ;   in Loop: Header=BB2_647 Depth=1
	v_ashrrev_i32_e32 v5, 31, v4
	v_lshlrev_b64 v[0:1], 2, v[4:5]
	v_mov_b32_e32 v5, s35
	v_add_co_u32_e32 v0, vcc, s29, v0
	v_addc_co_u32_e32 v1, vcc, v5, v1, vcc
	global_load_dword v0, v[0:1], off
	s_cbranch_execz .LBB2_757
	s_branch .LBB2_758
.LBB2_756:                              ;   in Loop: Header=BB2_647 Depth=1
                                        ; implicit-def: $vgpr0
.LBB2_757:                              ;   in Loop: Header=BB2_647 Depth=1
	s_waitcnt vmcnt(0)
	v_add3_u32 v0, v4, s20, 1
.LBB2_758:                              ;   in Loop: Header=BB2_647 Depth=1
	v_mov_b32_e32 v1, s33
	v_add_co_u32_e32 v6, vcc, s21, v6
	v_addc_co_u32_e32 v7, vcc, v1, v7, vcc
	s_waitcnt vmcnt(0)
	global_store_dword v[6:7], v0, off
.LBB2_759:                              ;   in Loop: Header=BB2_647 Depth=1
	s_or_b64 exec, exec, s[10:11]
	v_cmp_gt_i32_e32 vcc, 0, v2
	v_cndmask_b32_e64 v0, v32, 0, vcc
	v_xor_b32_e32 v0, v0, v2
	v_and_b32_e32 v0, s17, v0
	v_cmp_le_u32_e32 vcc, v0, v28
	s_and_saveexec_b64 s[10:11], vcc
	s_cbranch_execz .LBB2_767
; %bb.760:                              ;   in Loop: Header=BB2_647 Depth=1
	s_mov_b64 s[14:15], exec
	v_mbcnt_lo_u32_b32 v0, s14, 0
	v_mbcnt_hi_u32_b32 v0, s15, v0
	v_cmp_eq_u32_e32 vcc, 0, v0
                                        ; implicit-def: $vgpr1
	s_and_saveexec_b64 s[12:13], vcc
	s_cbranch_execz .LBB2_762
; %bb.761:                              ;   in Loop: Header=BB2_647 Depth=1
	s_bcnt1_i32_b64 s14, s[14:15]
	v_mov_b32_e32 v1, s14
	global_atomic_add v1, v29, v1, s[24:25] offset:384 glc
.LBB2_762:                              ;   in Loop: Header=BB2_647 Depth=1
	s_or_b64 exec, exec, s[12:13]
	s_waitcnt vmcnt(0)
	v_readfirstlane_b32 s12, v1
	v_add_u32_e32 v0, s12, v0
	v_ashrrev_i32_e32 v1, 31, v0
	v_lshlrev_b64 v[0:1], 2, v[0:1]
	v_mov_b32_e32 v5, s61
	v_add_co_u32_e32 v6, vcc, s60, v0
	v_addc_co_u32_e32 v7, vcc, v5, v1, vcc
	s_and_b64 vcc, exec, s[4:5]
	global_store_dword v[6:7], v2, off
	s_cbranch_vccnz .LBB2_764
; %bb.763:                              ;   in Loop: Header=BB2_647 Depth=1
	v_ashrrev_i32_e32 v5, 31, v4
	v_lshlrev_b64 v[6:7], 2, v[4:5]
	v_mov_b32_e32 v2, s65
	v_add_co_u32_e32 v6, vcc, s64, v6
	v_addc_co_u32_e32 v7, vcc, v2, v7, vcc
	global_load_dword v2, v[6:7], off
	s_cbranch_execz .LBB2_765
	s_branch .LBB2_766
.LBB2_764:                              ;   in Loop: Header=BB2_647 Depth=1
                                        ; implicit-def: $vgpr2
.LBB2_765:                              ;   in Loop: Header=BB2_647 Depth=1
	s_waitcnt vmcnt(0)
	v_add3_u32 v2, v4, s20, 2
.LBB2_766:                              ;   in Loop: Header=BB2_647 Depth=1
	v_mov_b32_e32 v5, s33
	v_add_co_u32_e32 v0, vcc, s21, v0
	v_addc_co_u32_e32 v1, vcc, v5, v1, vcc
	s_waitcnt vmcnt(0)
	global_store_dword v[0:1], v2, off
.LBB2_767:                              ;   in Loop: Header=BB2_647 Depth=1
	s_or_b64 exec, exec, s[10:11]
	v_cmp_gt_i32_e32 vcc, 0, v3
	v_cndmask_b32_e64 v0, v32, 0, vcc
	v_xor_b32_e32 v0, v0, v3
	v_and_b32_e32 v0, s17, v0
	v_cmp_le_u32_e32 vcc, v0, v28
	s_and_saveexec_b64 s[10:11], vcc
	s_cbranch_execz .LBB2_646
; %bb.768:                              ;   in Loop: Header=BB2_647 Depth=1
	s_mov_b64 s[14:15], exec
	v_mbcnt_lo_u32_b32 v0, s14, 0
	v_mbcnt_hi_u32_b32 v0, s15, v0
	v_cmp_eq_u32_e32 vcc, 0, v0
                                        ; implicit-def: $vgpr1
	s_and_saveexec_b64 s[12:13], vcc
	s_cbranch_execz .LBB2_770
; %bb.769:                              ;   in Loop: Header=BB2_647 Depth=1
	s_bcnt1_i32_b64 s14, s[14:15]
	v_mov_b32_e32 v1, s14
	global_atomic_add v1, v29, v1, s[24:25] offset:384 glc
.LBB2_770:                              ;   in Loop: Header=BB2_647 Depth=1
	s_or_b64 exec, exec, s[12:13]
	s_waitcnt vmcnt(0)
	v_readfirstlane_b32 s12, v1
	v_add_u32_e32 v0, s12, v0
	v_ashrrev_i32_e32 v1, 31, v0
	v_lshlrev_b64 v[0:1], 2, v[0:1]
	v_mov_b32_e32 v2, s61
	v_add_co_u32_e32 v6, vcc, s60, v0
	v_addc_co_u32_e32 v7, vcc, v2, v1, vcc
	s_and_b64 vcc, exec, s[4:5]
	global_store_dword v[6:7], v3, off
	s_cbranch_vccnz .LBB2_772
; %bb.771:                              ;   in Loop: Header=BB2_647 Depth=1
	v_ashrrev_i32_e32 v5, 31, v4
	v_lshlrev_b64 v[2:3], 2, v[4:5]
	v_mov_b32_e32 v5, s67
	v_add_co_u32_e32 v2, vcc, s66, v2
	v_addc_co_u32_e32 v3, vcc, v5, v3, vcc
	global_load_dword v2, v[2:3], off
	s_cbranch_execnz .LBB2_645
	s_branch .LBB2_644
.LBB2_772:                              ;   in Loop: Header=BB2_647 Depth=1
                                        ; implicit-def: $vgpr2
	s_branch .LBB2_644
.LBB2_773:
	s_or_b64 exec, exec, s[8:9]
	v_mov_b32_e32 v24, v20
.LBB2_774:
	s_or_b64 exec, exec, s[6:7]
	v_cmp_gt_i32_e32 vcc, s30, v24
	s_and_saveexec_b64 s[6:7], vcc
	s_cbranch_execz .LBB2_809
; %bb.775:
	v_cndmask_b32_e64 v0, 0, 1, s[26:27]
	s_lshl_b32 s17, -1, s16
	v_lshl_add_u32 v4, v24, 2, s34
	s_mov_b64 s[8:9], 0
	v_mov_b32_e32 v8, s68
	v_bfrev_b32_e32 v9, -2
	v_mov_b32_e32 v10, 0
	v_cmp_ne_u32_e64 s[4:5], 1, v0
	s_branch .LBB2_779
.LBB2_776:                              ;   in Loop: Header=BB2_779 Depth=1
	s_waitcnt vmcnt(0)
	v_add3_u32 v2, s20, v4, 3
.LBB2_777:                              ;   in Loop: Header=BB2_779 Depth=1
	v_mov_b32_e32 v3, s33
	v_add_co_u32_e32 v0, vcc, s21, v0
	v_addc_co_u32_e32 v1, vcc, v3, v1, vcc
	s_waitcnt vmcnt(0)
	global_store_dword v[0:1], v2, off
.LBB2_778:                              ;   in Loop: Header=BB2_779 Depth=1
	s_or_b64 exec, exec, s[10:11]
	v_add_u32_e32 v24, s28, v24
	v_cmp_le_i32_e32 vcc, s30, v24
	s_or_b64 s[8:9], vcc, s[8:9]
	v_add_u32_e32 v4, s63, v4
	s_andn2_b64 exec, exec, s[8:9]
	s_cbranch_execz .LBB2_809
.LBB2_779:                              ; =>This Inner Loop Header: Depth=1
	v_ashrrev_i32_e32 v25, 31, v24
	v_lshlrev_b64 v[0:1], 4, v[24:25]
	v_add_co_u32_e32 v0, vcc, s62, v0
	v_addc_co_u32_e32 v1, vcc, v8, v1, vcc
	global_load_dwordx4 v[0:3], v[0:1], off
	s_waitcnt vmcnt(0)
	v_cmp_gt_i32_e32 vcc, 0, v0
	v_cndmask_b32_e64 v5, v9, 0, vcc
	v_xor_b32_e32 v5, v5, v0
	v_and_b32_e32 v5, s17, v5
	s_waitcnt lgkmcnt(0)
	v_cmp_le_u32_e32 vcc, v5, v28
	s_and_saveexec_b64 s[10:11], vcc
	s_cbranch_execz .LBB2_787
; %bb.780:                              ;   in Loop: Header=BB2_779 Depth=1
	s_mov_b64 s[14:15], exec
	v_mbcnt_lo_u32_b32 v5, s14, 0
	v_mbcnt_hi_u32_b32 v5, s15, v5
	v_cmp_eq_u32_e32 vcc, 0, v5
                                        ; implicit-def: $vgpr6
	s_and_saveexec_b64 s[12:13], vcc
	s_cbranch_execz .LBB2_782
; %bb.781:                              ;   in Loop: Header=BB2_779 Depth=1
	s_bcnt1_i32_b64 s14, s[14:15]
	v_mov_b32_e32 v6, s14
	global_atomic_add v6, v10, v6, s[24:25] offset:384 glc
.LBB2_782:                              ;   in Loop: Header=BB2_779 Depth=1
	s_or_b64 exec, exec, s[12:13]
	s_waitcnt vmcnt(0)
	v_readfirstlane_b32 s12, v6
	v_add_u32_e32 v6, s12, v5
	v_ashrrev_i32_e32 v7, 31, v6
	v_lshlrev_b64 v[6:7], 2, v[6:7]
	v_mov_b32_e32 v5, s61
	v_add_co_u32_e32 v20, vcc, s60, v6
	v_addc_co_u32_e32 v21, vcc, v5, v7, vcc
	s_and_b64 vcc, exec, s[4:5]
	global_store_dword v[20:21], v0, off
	s_cbranch_vccnz .LBB2_784
; %bb.783:                              ;   in Loop: Header=BB2_779 Depth=1
	v_ashrrev_i32_e32 v5, 31, v4
	v_lshlrev_b64 v[20:21], 2, v[4:5]
	v_mov_b32_e32 v0, s23
	v_add_co_u32_e32 v20, vcc, s22, v20
	v_addc_co_u32_e32 v21, vcc, v0, v21, vcc
	global_load_dword v0, v[20:21], off
	s_cbranch_execz .LBB2_785
	s_branch .LBB2_786
.LBB2_784:                              ;   in Loop: Header=BB2_779 Depth=1
                                        ; implicit-def: $vgpr0
.LBB2_785:                              ;   in Loop: Header=BB2_779 Depth=1
	s_waitcnt vmcnt(0)
	v_add_u32_e32 v0, s20, v4
.LBB2_786:                              ;   in Loop: Header=BB2_779 Depth=1
	v_mov_b32_e32 v5, s33
	v_add_co_u32_e32 v6, vcc, s21, v6
	v_addc_co_u32_e32 v7, vcc, v5, v7, vcc
	s_waitcnt vmcnt(0)
	global_store_dword v[6:7], v0, off
.LBB2_787:                              ;   in Loop: Header=BB2_779 Depth=1
	s_or_b64 exec, exec, s[10:11]
	v_cmp_gt_i32_e32 vcc, 0, v1
	v_cndmask_b32_e64 v0, v9, 0, vcc
	v_xor_b32_e32 v0, v0, v1
	v_and_b32_e32 v0, s17, v0
	v_cmp_le_u32_e32 vcc, v0, v28
	s_and_saveexec_b64 s[10:11], vcc
	s_cbranch_execz .LBB2_795
; %bb.788:                              ;   in Loop: Header=BB2_779 Depth=1
	s_mov_b64 s[14:15], exec
	v_mbcnt_lo_u32_b32 v0, s14, 0
	v_mbcnt_hi_u32_b32 v0, s15, v0
	v_cmp_eq_u32_e32 vcc, 0, v0
                                        ; implicit-def: $vgpr5
	s_and_saveexec_b64 s[12:13], vcc
	s_cbranch_execz .LBB2_790
; %bb.789:                              ;   in Loop: Header=BB2_779 Depth=1
	s_bcnt1_i32_b64 s14, s[14:15]
	v_mov_b32_e32 v5, s14
	global_atomic_add v5, v10, v5, s[24:25] offset:384 glc
.LBB2_790:                              ;   in Loop: Header=BB2_779 Depth=1
	s_or_b64 exec, exec, s[12:13]
	s_waitcnt vmcnt(0)
	v_readfirstlane_b32 s12, v5
	v_add_u32_e32 v6, s12, v0
	v_ashrrev_i32_e32 v7, 31, v6
	v_lshlrev_b64 v[6:7], 2, v[6:7]
	v_mov_b32_e32 v0, s61
	v_add_co_u32_e32 v20, vcc, s60, v6
	v_addc_co_u32_e32 v21, vcc, v0, v7, vcc
	s_and_b64 vcc, exec, s[4:5]
	global_store_dword v[20:21], v1, off
	s_cbranch_vccnz .LBB2_792
; %bb.791:                              ;   in Loop: Header=BB2_779 Depth=1
	v_ashrrev_i32_e32 v5, 31, v4
	v_lshlrev_b64 v[0:1], 2, v[4:5]
	v_mov_b32_e32 v5, s35
	v_add_co_u32_e32 v0, vcc, s29, v0
	v_addc_co_u32_e32 v1, vcc, v5, v1, vcc
	global_load_dword v0, v[0:1], off
	s_cbranch_execz .LBB2_793
	s_branch .LBB2_794
.LBB2_792:                              ;   in Loop: Header=BB2_779 Depth=1
                                        ; implicit-def: $vgpr0
.LBB2_793:                              ;   in Loop: Header=BB2_779 Depth=1
	s_waitcnt vmcnt(0)
	v_add3_u32 v0, s20, v4, 1
.LBB2_794:                              ;   in Loop: Header=BB2_779 Depth=1
	v_mov_b32_e32 v1, s33
	v_add_co_u32_e32 v6, vcc, s21, v6
	v_addc_co_u32_e32 v7, vcc, v1, v7, vcc
	s_waitcnt vmcnt(0)
	global_store_dword v[6:7], v0, off
.LBB2_795:                              ;   in Loop: Header=BB2_779 Depth=1
	s_or_b64 exec, exec, s[10:11]
	v_cmp_gt_i32_e32 vcc, 0, v2
	v_cndmask_b32_e64 v0, v9, 0, vcc
	v_xor_b32_e32 v0, v0, v2
	v_and_b32_e32 v0, s17, v0
	v_cmp_le_u32_e32 vcc, v0, v28
	s_and_saveexec_b64 s[10:11], vcc
	s_cbranch_execz .LBB2_803
; %bb.796:                              ;   in Loop: Header=BB2_779 Depth=1
	s_mov_b64 s[14:15], exec
	v_mbcnt_lo_u32_b32 v0, s14, 0
	v_mbcnt_hi_u32_b32 v0, s15, v0
	v_cmp_eq_u32_e32 vcc, 0, v0
                                        ; implicit-def: $vgpr1
	s_and_saveexec_b64 s[12:13], vcc
	s_cbranch_execz .LBB2_798
; %bb.797:                              ;   in Loop: Header=BB2_779 Depth=1
	s_bcnt1_i32_b64 s14, s[14:15]
	v_mov_b32_e32 v1, s14
	global_atomic_add v1, v10, v1, s[24:25] offset:384 glc
.LBB2_798:                              ;   in Loop: Header=BB2_779 Depth=1
	s_or_b64 exec, exec, s[12:13]
	s_waitcnt vmcnt(0)
	v_readfirstlane_b32 s12, v1
	v_add_u32_e32 v0, s12, v0
	v_ashrrev_i32_e32 v1, 31, v0
	v_lshlrev_b64 v[0:1], 2, v[0:1]
	v_mov_b32_e32 v5, s61
	v_add_co_u32_e32 v6, vcc, s60, v0
	v_addc_co_u32_e32 v7, vcc, v5, v1, vcc
	s_and_b64 vcc, exec, s[4:5]
	global_store_dword v[6:7], v2, off
	s_cbranch_vccnz .LBB2_800
; %bb.799:                              ;   in Loop: Header=BB2_779 Depth=1
	v_ashrrev_i32_e32 v5, 31, v4
	v_lshlrev_b64 v[6:7], 2, v[4:5]
	v_mov_b32_e32 v2, s65
	v_add_co_u32_e32 v6, vcc, s64, v6
	v_addc_co_u32_e32 v7, vcc, v2, v7, vcc
	global_load_dword v2, v[6:7], off
	s_cbranch_execz .LBB2_801
	s_branch .LBB2_802
.LBB2_800:                              ;   in Loop: Header=BB2_779 Depth=1
                                        ; implicit-def: $vgpr2
.LBB2_801:                              ;   in Loop: Header=BB2_779 Depth=1
	s_waitcnt vmcnt(0)
	v_add3_u32 v2, s20, v4, 2
.LBB2_802:                              ;   in Loop: Header=BB2_779 Depth=1
	v_mov_b32_e32 v5, s33
	v_add_co_u32_e32 v0, vcc, s21, v0
	v_addc_co_u32_e32 v1, vcc, v5, v1, vcc
	s_waitcnt vmcnt(0)
	global_store_dword v[0:1], v2, off
.LBB2_803:                              ;   in Loop: Header=BB2_779 Depth=1
	s_or_b64 exec, exec, s[10:11]
	v_cmp_gt_i32_e32 vcc, 0, v3
	v_cndmask_b32_e64 v0, v9, 0, vcc
	v_xor_b32_e32 v0, v0, v3
	v_and_b32_e32 v0, s17, v0
	v_cmp_le_u32_e32 vcc, v0, v28
	s_and_saveexec_b64 s[10:11], vcc
	s_cbranch_execz .LBB2_778
; %bb.804:                              ;   in Loop: Header=BB2_779 Depth=1
	s_mov_b64 s[14:15], exec
	v_mbcnt_lo_u32_b32 v0, s14, 0
	v_mbcnt_hi_u32_b32 v0, s15, v0
	v_cmp_eq_u32_e32 vcc, 0, v0
                                        ; implicit-def: $vgpr1
	s_and_saveexec_b64 s[12:13], vcc
	s_cbranch_execz .LBB2_806
; %bb.805:                              ;   in Loop: Header=BB2_779 Depth=1
	s_bcnt1_i32_b64 s14, s[14:15]
	v_mov_b32_e32 v1, s14
	global_atomic_add v1, v10, v1, s[24:25] offset:384 glc
.LBB2_806:                              ;   in Loop: Header=BB2_779 Depth=1
	s_or_b64 exec, exec, s[12:13]
	s_waitcnt vmcnt(0)
	v_readfirstlane_b32 s12, v1
	v_add_u32_e32 v0, s12, v0
	v_ashrrev_i32_e32 v1, 31, v0
	v_lshlrev_b64 v[0:1], 2, v[0:1]
	v_mov_b32_e32 v2, s61
	v_add_co_u32_e32 v6, vcc, s60, v0
	v_addc_co_u32_e32 v7, vcc, v2, v1, vcc
	s_and_b64 vcc, exec, s[4:5]
	global_store_dword v[6:7], v3, off
	s_cbranch_vccnz .LBB2_808
; %bb.807:                              ;   in Loop: Header=BB2_779 Depth=1
	v_ashrrev_i32_e32 v5, 31, v4
	v_lshlrev_b64 v[2:3], 2, v[4:5]
	v_mov_b32_e32 v5, s67
	v_add_co_u32_e32 v2, vcc, s66, v2
	v_addc_co_u32_e32 v3, vcc, v5, v3, vcc
	global_load_dword v2, v[2:3], off
	s_cbranch_execnz .LBB2_777
	s_branch .LBB2_776
.LBB2_808:                              ;   in Loop: Header=BB2_779 Depth=1
                                        ; implicit-def: $vgpr2
	s_branch .LBB2_776
.LBB2_809:
	s_or_b64 exec, exec, s[6:7]
	s_and_saveexec_b64 s[4:5], s[2:3]
	s_cbranch_execz .LBB2_816
; %bb.810:
	global_load_dword v2, v[18:19], off
	v_bfrev_b32_e32 v0, -2
	s_lshl_b32 s2, -1, s16
	s_waitcnt vmcnt(0)
	v_cmp_gt_i32_e32 vcc, 0, v2
	v_cndmask_b32_e64 v0, v0, 0, vcc
	v_xor_b32_e32 v0, v0, v2
	v_and_b32_e32 v0, s2, v0
	s_waitcnt lgkmcnt(0)
	v_cmp_le_u32_e32 vcc, v0, v28
	s_and_b64 exec, exec, vcc
	s_cbranch_execz .LBB2_816
; %bb.811:
	s_mov_b64 s[6:7], exec
	v_mbcnt_lo_u32_b32 v0, s6, 0
	v_mbcnt_hi_u32_b32 v0, s7, v0
	v_cmp_eq_u32_e32 vcc, 0, v0
                                        ; implicit-def: $vgpr1
	s_and_saveexec_b64 s[2:3], vcc
	s_cbranch_execz .LBB2_813
; %bb.812:
	s_bcnt1_i32_b64 s6, s[6:7]
	v_mov_b32_e32 v1, 0
	v_mov_b32_e32 v3, s6
	global_atomic_add v1, v1, v3, s[24:25] offset:384 glc
.LBB2_813:
	s_or_b64 exec, exec, s[2:3]
	s_waitcnt vmcnt(0)
	v_readfirstlane_b32 s2, v1
	v_add_u32_e32 v0, s2, v0
	v_ashrrev_i32_e32 v1, 31, v0
	v_lshlrev_b64 v[0:1], 2, v[0:1]
	v_mov_b32_e32 v3, s61
	v_add_co_u32_e32 v4, vcc, s60, v0
	v_addc_co_u32_e32 v5, vcc, v3, v1, vcc
	s_andn2_b64 vcc, exec, s[26:27]
	global_store_dword v[4:5], v2, off
	s_cbranch_vccnz .LBB2_815
; %bb.814:
	global_load_dword v49, v[16:17], off
.LBB2_815:
	v_mov_b32_e32 v2, s33
	v_add_co_u32_e32 v0, vcc, s21, v0
	v_addc_co_u32_e32 v1, vcc, v2, v1, vcc
	s_waitcnt vmcnt(0)
	global_store_dword v[0:1], v49, off
.LBB2_816:
	s_or_b64 exec, exec, s[4:5]
	s_and_saveexec_b64 s[2:3], s[0:1]
	s_cbranch_execz .LBB2_823
; %bb.817:
	global_load_dword v2, v[14:15], off
	v_bfrev_b32_e32 v0, -2
	s_lshl_b32 s0, -1, s16
	s_waitcnt vmcnt(0)
	v_cmp_gt_i32_e32 vcc, 0, v2
	v_cndmask_b32_e64 v0, v0, 0, vcc
	v_xor_b32_e32 v0, v0, v2
	v_and_b32_e32 v0, s0, v0
	s_waitcnt lgkmcnt(0)
	v_cmp_le_u32_e32 vcc, v0, v28
	s_and_b64 exec, exec, vcc
	s_cbranch_execz .LBB2_823
; %bb.818:
	s_mov_b64 s[2:3], exec
	v_mbcnt_lo_u32_b32 v0, s2, 0
	v_mbcnt_hi_u32_b32 v0, s3, v0
	v_cmp_eq_u32_e32 vcc, 0, v0
                                        ; implicit-def: $vgpr1
	s_and_saveexec_b64 s[0:1], vcc
	s_cbranch_execz .LBB2_820
; %bb.819:
	s_bcnt1_i32_b64 s2, s[2:3]
	v_mov_b32_e32 v1, 0
	v_mov_b32_e32 v3, s2
	global_atomic_add v1, v1, v3, s[24:25] offset:384 glc
.LBB2_820:
	s_or_b64 exec, exec, s[0:1]
	s_waitcnt vmcnt(0)
	v_readfirstlane_b32 s0, v1
	v_add_u32_e32 v0, s0, v0
	v_ashrrev_i32_e32 v1, 31, v0
	v_lshlrev_b64 v[0:1], 2, v[0:1]
	v_mov_b32_e32 v3, s61
	v_add_co_u32_e32 v4, vcc, s60, v0
	v_addc_co_u32_e32 v5, vcc, v3, v1, vcc
	s_andn2_b64 vcc, exec, s[26:27]
	global_store_dword v[4:5], v2, off
	s_cbranch_vccnz .LBB2_822
; %bb.821:
	global_load_dword v48, v[12:13], off
.LBB2_822:
	v_mov_b32_e32 v2, s33
	v_add_co_u32_e32 v0, vcc, s21, v0
	v_addc_co_u32_e32 v1, vcc, v2, v1, vcc
	s_waitcnt vmcnt(0)
	global_store_dword v[0:1], v48, off
.LBB2_823:
	s_endpgm
	.section	.rodata,"a",@progbits
	.p2align	6, 0x0
	.amdhsa_kernel _ZN5aiter2mb23radix_kernel_persistentIfiLi10ELi1024ELb1ELb0ELNS0_5PhaseE0EEEvPKT_PKT0_PS3_PS6_PNS0_7CounterIS3_S6_EESA_S6_S8_S8_S6_S6_b
		.amdhsa_group_segment_fixed_size 8592
		.amdhsa_private_segment_fixed_size 0
		.amdhsa_kernarg_size 344
		.amdhsa_user_sgpr_count 6
		.amdhsa_user_sgpr_private_segment_buffer 1
		.amdhsa_user_sgpr_dispatch_ptr 0
		.amdhsa_user_sgpr_queue_ptr 0
		.amdhsa_user_sgpr_kernarg_segment_ptr 1
		.amdhsa_user_sgpr_dispatch_id 0
		.amdhsa_user_sgpr_flat_scratch_init 0
		.amdhsa_user_sgpr_kernarg_preload_length 0
		.amdhsa_user_sgpr_kernarg_preload_offset 0
		.amdhsa_user_sgpr_private_segment_size 0
		.amdhsa_uses_dynamic_stack 0
		.amdhsa_system_sgpr_private_segment_wavefront_offset 0
		.amdhsa_system_sgpr_workgroup_id_x 1
		.amdhsa_system_sgpr_workgroup_id_y 1
		.amdhsa_system_sgpr_workgroup_id_z 0
		.amdhsa_system_sgpr_workgroup_info 0
		.amdhsa_system_vgpr_workitem_id 2
		.amdhsa_next_free_vgpr 64
		.amdhsa_next_free_sgpr 92
		.amdhsa_accum_offset 64
		.amdhsa_reserve_vcc 1
		.amdhsa_reserve_flat_scratch 0
		.amdhsa_float_round_mode_32 0
		.amdhsa_float_round_mode_16_64 0
		.amdhsa_float_denorm_mode_32 3
		.amdhsa_float_denorm_mode_16_64 3
		.amdhsa_dx10_clamp 1
		.amdhsa_ieee_mode 1
		.amdhsa_fp16_overflow 0
		.amdhsa_tg_split 0
		.amdhsa_exception_fp_ieee_invalid_op 0
		.amdhsa_exception_fp_denorm_src 0
		.amdhsa_exception_fp_ieee_div_zero 0
		.amdhsa_exception_fp_ieee_overflow 0
		.amdhsa_exception_fp_ieee_underflow 0
		.amdhsa_exception_fp_ieee_inexact 0
		.amdhsa_exception_int_div_zero 0
	.end_amdhsa_kernel
	.section	.text._ZN5aiter2mb23radix_kernel_persistentIfiLi10ELi1024ELb1ELb0ELNS0_5PhaseE0EEEvPKT_PKT0_PS3_PS6_PNS0_7CounterIS3_S6_EESA_S6_S8_S8_S6_S6_b,"axG",@progbits,_ZN5aiter2mb23radix_kernel_persistentIfiLi10ELi1024ELb1ELb0ELNS0_5PhaseE0EEEvPKT_PKT0_PS3_PS6_PNS0_7CounterIS3_S6_EESA_S6_S8_S8_S6_S6_b,comdat
.Lfunc_end2:
	.size	_ZN5aiter2mb23radix_kernel_persistentIfiLi10ELi1024ELb1ELb0ELNS0_5PhaseE0EEEvPKT_PKT0_PS3_PS6_PNS0_7CounterIS3_S6_EESA_S6_S8_S8_S6_S6_b, .Lfunc_end2-_ZN5aiter2mb23radix_kernel_persistentIfiLi10ELi1024ELb1ELb0ELNS0_5PhaseE0EEEvPKT_PKT0_PS3_PS6_PNS0_7CounterIS3_S6_EESA_S6_S8_S8_S6_S6_b
                                        ; -- End function
	.section	.AMDGPU.csdata,"",@progbits
; Kernel info:
; codeLenInByte = 23340
; NumSgprs: 96
; NumVgprs: 64
; NumAgprs: 0
; TotalNumVgprs: 64
; ScratchSize: 0
; MemoryBound: 0
; FloatMode: 240
; IeeeMode: 1
; LDSByteSize: 8592 bytes/workgroup (compile time only)
; SGPRBlocks: 11
; VGPRBlocks: 7
; NumSGPRsForWavesPerEU: 96
; NumVGPRsForWavesPerEU: 64
; AccumOffset: 64
; Occupancy: 8
; WaveLimiterHint : 0
; COMPUTE_PGM_RSRC2:SCRATCH_EN: 0
; COMPUTE_PGM_RSRC2:USER_SGPR: 6
; COMPUTE_PGM_RSRC2:TRAP_HANDLER: 0
; COMPUTE_PGM_RSRC2:TGID_X_EN: 1
; COMPUTE_PGM_RSRC2:TGID_Y_EN: 1
; COMPUTE_PGM_RSRC2:TGID_Z_EN: 0
; COMPUTE_PGM_RSRC2:TIDIG_COMP_CNT: 2
; COMPUTE_PGM_RSRC3_GFX90A:ACCUM_OFFSET: 15
; COMPUTE_PGM_RSRC3_GFX90A:TG_SPLIT: 0
	.section	.text._ZN5aiter2mb23radix_kernel_persistentIfiLi11ELi1024ELb0ELb0ELNS0_5PhaseE0EEEvPKT_PKT0_PS3_PS6_PNS0_7CounterIS3_S6_EESA_S6_S8_S8_S6_S6_b,"axG",@progbits,_ZN5aiter2mb23radix_kernel_persistentIfiLi11ELi1024ELb0ELb0ELNS0_5PhaseE0EEEvPKT_PKT0_PS3_PS6_PNS0_7CounterIS3_S6_EESA_S6_S8_S8_S6_S6_b,comdat
	.protected	_ZN5aiter2mb23radix_kernel_persistentIfiLi11ELi1024ELb0ELb0ELNS0_5PhaseE0EEEvPKT_PKT0_PS3_PS6_PNS0_7CounterIS3_S6_EESA_S6_S8_S8_S6_S6_b ; -- Begin function _ZN5aiter2mb23radix_kernel_persistentIfiLi11ELi1024ELb0ELb0ELNS0_5PhaseE0EEEvPKT_PKT0_PS3_PS6_PNS0_7CounterIS3_S6_EESA_S6_S8_S8_S6_S6_b
	.globl	_ZN5aiter2mb23radix_kernel_persistentIfiLi11ELi1024ELb0ELb0ELNS0_5PhaseE0EEEvPKT_PKT0_PS3_PS6_PNS0_7CounterIS3_S6_EESA_S6_S8_S8_S6_S6_b
	.p2align	8
	.type	_ZN5aiter2mb23radix_kernel_persistentIfiLi11ELi1024ELb0ELb0ELNS0_5PhaseE0EEEvPKT_PKT0_PS3_PS6_PNS0_7CounterIS3_S6_EESA_S6_S8_S8_S6_S6_b,@function
_ZN5aiter2mb23radix_kernel_persistentIfiLi11ELi1024ELb0ELb0ELNS0_5PhaseE0EEEvPKT_PKT0_PS3_PS6_PNS0_7CounterIS3_S6_EESA_S6_S8_S8_S6_S6_b: ; @_ZN5aiter2mb23radix_kernel_persistentIfiLi11ELi1024ELb0ELb0ELNS0_5PhaseE0EEEvPKT_PKT0_PS3_PS6_PNS0_7CounterIS3_S6_EESA_S6_S8_S8_S6_S6_b
; %bb.0:
	s_load_dwordx4 s[0:3], s[4:5], 0x38
	s_load_dword s12, s[4:5], 0x30
	s_mov_b32 s24, s7
	s_mov_b32 s25, 0
	s_waitcnt lgkmcnt(0)
	s_cmp_lg_u64 s[0:1], 0
	s_cselect_b64 s[8:9], -1, 0
	s_cmp_eq_u64 s[0:1], 0
	s_cselect_b64 s[10:11], -1, 0
	s_cmp_eq_u64 s[2:3], 0
	s_cselect_b64 s[14:15], -1, 0
	s_or_b64 s[10:11], s[10:11], s[14:15]
	s_and_b64 vcc, exec, s[10:11]
	s_mov_b32 s7, s12
	s_cbranch_vccnz .LBB3_2
; %bb.1:
	s_lshl_b64 s[10:11], s[24:25], 2
	s_add_u32 s14, s0, s10
	s_addc_u32 s15, s1, s11
	s_add_u32 s2, s2, s10
	s_addc_u32 s3, s3, s11
	s_load_dword s7, s[2:3], 0x0
	s_load_dword s10, s[14:15], 0x0
	s_waitcnt lgkmcnt(0)
	s_sub_i32 s7, s7, s10
.LBB3_2:
	s_andn2_b64 vcc, exec, s[8:9]
	s_cbranch_vccnz .LBB3_4
; %bb.3:
	s_lshl_b64 s[2:3], s[24:25], 2
	s_add_u32 s0, s0, s2
	s_addc_u32 s1, s1, s3
	s_load_dword s25, s[0:1], 0x0
.LBB3_4:
	s_load_dword s71, s[4:5], 0x48
	s_load_dword s16, s[4:5], 0x64
	s_add_u32 s40, s4, 0x58
	v_and_b32_e32 v26, 0x3ff, v0
	s_addc_u32 s41, s5, 0
	v_cmp_ne_u32_e64 s[20:21], 0, v26
	v_cmp_eq_u32_e64 s[22:23], 0, v26
	s_and_saveexec_b64 s[0:1], s[22:23]
	s_cbranch_execz .LBB3_6
; %bb.5:
	v_mov_b32_e32 v2, 0
	s_waitcnt lgkmcnt(0)
	v_mov_b32_e32 v3, s71
	v_mov_b32_e32 v4, s7
	ds_write_b96 v2, v[2:4] offset:16896
.LBB3_6:
	s_or_b64 exec, exec, s[0:1]
	s_load_dword s77, s[4:5], 0x58
	s_load_dwordx4 s[8:11], s[4:5], 0x0
	s_load_dwordx4 s[0:3], s[4:5], 0x18
	s_ashr_i32 s13, s12, 31
	s_mul_hi_u32 s14, s12, s24
	s_mul_i32 s13, s13, s24
	s_add_i32 s13, s14, s13
	s_mul_i32 s12, s12, s24
	s_waitcnt lgkmcnt(0)
	s_ashr_i32 s15, s25, 31
	s_lshl_b64 s[12:13], s[12:13], 2
	s_mov_b32 s14, s25
	s_add_u32 s17, s10, s12
	s_addc_u32 s18, s11, s13
	s_lshl_b64 s[14:15], s[14:15], 2
	s_add_u32 s17, s17, s14
	s_addc_u32 s18, s18, s15
	s_cmp_lg_u64 s[10:11], 0
	s_cselect_b32 s27, s18, 0
	s_cselect_b32 s26, s17, 0
	s_ashr_i32 s10, s71, 31
	s_mul_hi_u32 s11, s71, s24
	s_mul_i32 s10, s10, s24
	s_add_i32 s11, s11, s10
	s_mul_i32 s10, s71, s24
	s_lshl_b64 s[10:11], s[10:11], 2
	s_add_u32 s33, s0, s10
	s_addc_u32 s62, s1, s11
	s_and_b32 s72, 0xffff, s16
	s_cmp_le_i32 s7, s71
	s_mov_b64 s[0:1], -1
	s_barrier
	s_cbranch_scc0 .LBB3_16
; %bb.7:
	s_cmp_eq_u32 s6, 0
	s_cselect_b64 s[0:1], -1, 0
	v_cmp_gt_i32_e32 vcc, s71, v26
	s_and_b64 s[0:1], s[0:1], vcc
	s_and_saveexec_b64 s[10:11], s[0:1]
	s_cbranch_execz .LBB3_15
; %bb.8:
	s_cmp_lg_u64 s[26:27], 0
	s_cselect_b64 s[0:1], -1, 0
	v_cndmask_b32_e64 v1, 0, 1, s[0:1]
	s_mov_b64 s[16:17], 0
	v_cmp_ne_u32_e64 s[0:1], 1, v1
	v_mov_b32_e32 v1, s62
	v_mov_b32_e32 v2, v26
	s_branch .LBB3_11
.LBB3_9:                                ;   in Loop: Header=BB3_11 Depth=1
	s_waitcnt vmcnt(0)
	v_add_u32_e32 v4, s25, v2
.LBB3_10:                               ;   in Loop: Header=BB3_11 Depth=1
	s_or_b64 exec, exec, s[18:19]
	v_ashrrev_i32_e32 v3, 31, v2
	v_lshlrev_b64 v[6:7], 2, v[2:3]
	v_add_co_u32_e32 v6, vcc, s33, v6
	v_addc_co_u32_e32 v7, vcc, v1, v7, vcc
	v_add_u32_e32 v2, s72, v2
	v_cmp_le_i32_e32 vcc, s71, v2
	s_or_b64 s[16:17], vcc, s[16:17]
	s_waitcnt vmcnt(0)
	global_store_dword v[6:7], v4, off
	s_andn2_b64 exec, exec, s[16:17]
	s_cbranch_execz .LBB3_15
.LBB3_11:                               ; =>This Inner Loop Header: Depth=1
	v_cmp_gt_i32_e32 vcc, s7, v2
	v_mov_b32_e32 v4, -1
	s_and_saveexec_b64 s[18:19], vcc
	s_cbranch_execz .LBB3_10
; %bb.12:                               ;   in Loop: Header=BB3_11 Depth=1
	s_and_b64 vcc, exec, s[0:1]
	s_cbranch_vccnz .LBB3_14
; %bb.13:                               ;   in Loop: Header=BB3_11 Depth=1
	v_ashrrev_i32_e32 v3, 31, v2
	v_lshlrev_b64 v[4:5], 2, v[2:3]
	v_mov_b32_e32 v3, s27
	v_add_co_u32_e32 v4, vcc, s26, v4
	v_addc_co_u32_e32 v5, vcc, v3, v5, vcc
	global_load_dword v4, v[4:5], off
	s_cbranch_execnz .LBB3_10
	s_branch .LBB3_9
.LBB3_14:                               ;   in Loop: Header=BB3_11 Depth=1
                                        ; implicit-def: $vgpr4
	s_branch .LBB3_9
.LBB3_15:
	s_or_b64 exec, exec, s[10:11]
	s_mov_b64 s[0:1], 0
.LBB3_16:
	s_andn2_b64 vcc, exec, s[0:1]
	s_cbranch_vccnz .LBB3_823
; %bb.17:
	s_load_dwordx2 s[0:1], s[4:5], 0x28
	s_mul_i32 s5, s24, 0x300
	s_mul_hi_u32 s4, s24, 0x300
	s_add_u32 s28, s2, s5
	s_addc_u32 s29, s3, s4
	s_mul_i32 s3, s24, 0x6000
	s_mul_hi_u32 s2, s24, 0x6000
	s_waitcnt lgkmcnt(0)
	s_add_u32 s42, s0, s3
	s_addc_u32 s43, s1, s2
	s_add_u32 s0, s8, s12
	s_addc_u32 s1, s9, s13
	v_mov_b32_e32 v29, 0
	s_add_u32 s4, s0, s14
	v_mov_b32_e32 v27, v29
	v_mov_b32_e32 v1, s6
	s_addc_u32 s5, s1, s15
	v_mad_u64_u32 v[24:25], s[0:1], s72, v1, v[26:27]
	s_and_b32 s44, s4, 15
	s_sub_i32 s0, 16, s44
	s_mov_b32 s45, 0
	s_lshr_b32 s0, s0, 2
	s_cmp_lg_u64 s[44:45], 0
	s_cselect_b32 s0, s0, 0
	s_min_i32 s36, s0, s7
	s_ashr_i32 s37, s36, 31
	s_lshl_b64 s[0:1], s[36:37], 2
	s_add_u32 s24, s4, s0
	s_addc_u32 s68, s5, s1
	s_sub_i32 s0, s7, s36
	s_ashr_i32 s1, s0, 31
	s_lshr_b32 s1, s1, 30
	s_mul_hi_u32 s31, s72, s77
	s_mul_i32 s30, s72, s77
	s_add_i32 s10, s0, s1
	s_ashr_i32 s34, s10, 2
	s_mul_i32 s2, s31, 3
	s_mul_hi_u32 s0, s30, 3
	s_lshl_b32 s63, s30, 2
	s_add_i32 s69, s0, s2
	s_ashr_i32 s35, s34, 31
	s_lshl_b64 s[38:39], s[30:31], 4
	s_add_u32 s73, s24, s38
	s_addc_u32 s74, s68, s39
	v_ashrrev_i32_e32 v21, 31, v24
	v_mov_b32_e32 v20, v24
	v_mad_u64_u32 v[22:23], s[0:1], s30, 3, v[20:21]
	s_add_u32 s75, s73, s38
	s_addc_u32 s76, s74, s39
	s_and_b32 s0, s10, -4
	v_add_u32_e32 v23, s2, v23
	v_cmp_gt_u64_e64 s[2:3], s[36:37], v[24:25]
	v_lshlrev_b64 v[4:5], 2, v[24:25]
	s_add_i32 s0, s0, s36
	v_bfe_u32 v25, v0, 20, 10
	v_bfe_u32 v51, v0, 10, 10
	v_lshrrev_b32_e32 v0, 3, v26
	v_lshlrev_b32_e32 v30, 2, v26
	v_mov_b32_e32 v1, s5
	v_add_co_u32_e32 v16, vcc, s4, v4
	v_add_u32_e32 v4, s0, v24
	v_and_b32_e32 v0, 0x7c, v0
	v_addc_co_u32_e32 v17, vcc, v1, v5, vcc
	v_ashrrev_i32_e32 v5, 31, v4
	v_add_u32_e32 v52, v30, v0
	v_or_b32_e32 v0, 0x400, v26
	v_lshlrev_b64 v[6:7], 2, v[4:5]
	v_lshrrev_b32_e32 v0, 3, v0
	v_add_co_u32_e32 v12, vcc, s4, v6
	v_and_b32_e32 v0, 0xfc, v0
	v_addc_co_u32_e32 v13, vcc, v1, v7, vcc
	v_add_u32_e32 v53, v30, v0
	v_lshlrev_b32_e32 v0, 1, v26
	v_lshrrev_b32_e32 v1, 4, v26
	v_add_lshl_u32 v54, v1, v0, 2
	v_lshlrev_b32_e32 v0, 4, v26
	v_lshrrev_b32_e32 v1, 1, v26
	v_add_lshl_u32 v55, v1, v0, 2
	v_add_u32_e32 v0, -1, v26
	v_lshrrev_b32_e32 v1, 5, v0
	v_mov_b32_e32 v2, v29
	v_mov_b32_e32 v3, v24
	v_add_lshl_u32 v56, v1, v0, 2
	v_or_b32_e32 v0, s6, v26
	v_cmp_eq_u32_e64 s[12:13], 0, v0
	v_ashrrev_i64 v[0:1], 30, v[2:3]
	v_mov_b32_e32 v2, s27
	v_add_co_u32_e32 v18, vcc, s26, v0
	v_addc_co_u32_e32 v19, vcc, v2, v1, vcc
	v_cvt_f32_u32_e32 v1, s72
	s_add_i32 s77, s77, -1
	s_lshl_b32 s78, s72, 8
	s_mov_b64 s[4:5], src_shared_base
	v_rcp_iflag_f32_e32 v1, v1
	v_add_co_u32_e32 v14, vcc, s26, v6
	s_cmp_eq_u64 s[26:27], 0
	v_mul_f32_e32 v1, 0x4f7ffffe, v1
	v_addc_co_u32_e32 v15, vcc, v2, v7, vcc
	v_add_u32_e32 v0, s72, v26
	s_movk_i32 s4, 0x800
	v_cvt_u32_f32_e32 v1, v1
	s_cselect_b64 s[46:47], -1, 0
	s_cmp_lg_u64 s[26:27], 0
	v_mov_b32_e32 v3, s72
	v_cmp_gt_u32_e32 vcc, s4, v0
	v_cmp_gt_i32_e64 s[0:1], s7, v4
	v_mov_b32_e32 v33, s5
	v_mov_b32_e32 v35, s5
	s_cselect_b64 s[6:7], -1, 0
	v_max_u32_e32 v2, 0x800, v0
	v_addc_co_u32_e64 v0, s[4:5], v26, v3, vcc
	s_cmp_eq_u32 s72, 1
	s_cselect_b64 s[14:15], -1, 0
	s_sub_i32 s4, 0, s72
	v_sub_u32_e32 v0, v2, v0
	v_mul_lo_u32 v2, s4, v1
	v_mul_hi_u32 v2, v1, v2
	v_add_u32_e32 v1, v1, v2
	v_mul_hi_u32 v1, v0, v1
	v_mul_lo_u32 v2, v1, s72
	v_sub_u32_e32 v0, v0, v2
	v_add_u32_e32 v2, 1, v1
	v_cmp_le_u32_e64 s[4:5], s72, v0
	v_cndmask_b32_e64 v1, v1, v2, s[4:5]
	v_subrev_u32_e32 v2, s72, v0
	v_cndmask_b32_e64 v0, v0, v2, s[4:5]
	v_add_u32_e32 v2, 1, v1
	v_cmp_le_u32_e64 s[4:5], s72, v0
	v_cndmask_b32_e64 v0, v1, v2, s[4:5]
	v_addc_co_u32_e64 v1, s[4:5], 1, v0, vcc
	v_cmp_lt_u32_e64 s[4:5], 1, v1
	s_and_b64 s[48:49], s[4:5], s[14:15]
	s_lshl_b32 s79, s72, 1
	s_add_u32 s31, s26, 4
	v_addc_co_u32_e32 v0, vcc, -1, v0, vcc
	s_addc_u32 s37, s27, 0
	v_lshrrev_b32_e32 v3, 1, v0
	s_add_u32 s64, s26, 8
	v_add_u32_e32 v3, 1, v3
	v_cmp_lt_u32_e64 s[14:15], 13, v0
	s_addc_u32 s65, s27, 0
	v_mov_b32_e32 v0, s43
	v_add_co_u32_e32 v38, vcc, s42, v30
	v_add_u32_e32 v27, s25, v4
	v_and_b32_e32 v2, -2, v1
	v_and_b32_e32 v57, 7, v3
	s_add_u32 s66, s26, 12
	v_addc_co_u32_e32 v39, vcc, 0, v0, vcc
	v_mbcnt_lo_u32_b32 v0, -1, 0
	s_mul_i32 s70, s30, 3
	v_cmp_gt_u64_e64 s[8:9], s[34:35], v[22:23]
	v_add_u32_e32 v32, 0x2100, v30
	v_add_u32_e32 v34, 0x3100, v30
	v_cmp_gt_u32_e64 s[10:11], 64, v26
	v_add_u32_e32 v50, s25, v24
	v_mad_u64_u32 v[36:37], s[4:5], v2, s72, v[26:27]
	v_and_b32_e32 v58, -8, v3
	v_cmp_ne_u32_e64 s[16:17], 0, v57
	v_cmp_ne_u32_e64 s[18:19], v1, v2
	s_addc_u32 s67, s27, 0
	s_lshl_b32 s80, s72, 6
	s_lshl_b32 s81, s72, 3
	;; [unrolled: 1-line block ×3, first 2 shown]
	v_mov_b32_e32 v31, v29
	s_mov_b32 s83, s45
	s_lshl_b32 s84, s72, 4
	s_mul_i32 s85, s72, 6
	s_mul_i32 s86, s72, 10
	;; [unrolled: 1-line block ×4, first 2 shown]
	s_mov_b32 s89, s45
	v_add_u32_e32 v59, 0x20fc, v30
	s_movk_i32 s90, 0x7ff
	v_mov_b32_e32 v60, 1
	v_bfrev_b32_e32 v61, -2
	v_mbcnt_hi_u32_b32 v62, -1, v0
	v_mov_b32_e32 v63, 0x2100
	s_mov_b64 s[50:51], s[42:43]
	s_mov_b32 s91, 0
	s_branch .LBB3_20
.LBB3_18:                               ;   in Loop: Header=BB3_20 Depth=1
	s_mov_b64 s[4:5], -1
	s_mov_b64 s[52:53], -1
                                        ; implicit-def: $sgpr91
                                        ; implicit-def: $vgpr38_vgpr39
                                        ; implicit-def: $sgpr50_sgpr51
                                        ; implicit-def: $sgpr92
.LBB3_19:                               ;   in Loop: Header=BB3_20 Depth=1
	s_and_b64 vcc, exec, s[52:53]
	s_cbranch_vccnz .LBB3_641
.LBB3_20:                               ; =>This Loop Header: Depth=1
                                        ;     Child Loop BB3_24 Depth 2
                                        ;     Child Loop BB3_28 Depth 2
	;; [unrolled: 1-line block ×15, first 2 shown]
	v_mov_b32_e32 v0, 0x4204
	s_waitcnt lgkmcnt(0)
	ds_read2_b32 v[40:41], v0 offset1:1
	s_waitcnt lgkmcnt(0)
	v_cmp_eq_u32_e32 vcc, 0, v41
	s_cbranch_vccnz .LBB3_18
; %bb.21:                               ;   in Loop: Header=BB3_20 Depth=1
	s_mov_b64 s[52:53], -1
	v_mov_b32_e32 v0, v26
	v_mov_b32_e32 v1, v30
	s_and_saveexec_b64 s[4:5], s[48:49]
	s_cbranch_execz .LBB3_32
; %bb.22:                               ;   in Loop: Header=BB3_20 Depth=1
	s_waitcnt vmcnt(0)
	v_mov_b32_e32 v2, 0
	s_and_saveexec_b64 s[52:53], s[14:15]
	s_cbranch_execz .LBB3_26
; %bb.23:                               ;   in Loop: Header=BB3_20 Depth=1
	s_mov_b32 s44, 0
	s_mov_b64 s[54:55], 0
	v_mov_b32_e32 v0, v58
	v_mov_b32_e32 v1, v32
.LBB3_24:                               ;   Parent Loop BB3_20 Depth=1
                                        ; =>  This Inner Loop Header: Depth=2
	v_add_u32_e32 v2, s81, v1
	v_add_u32_e32 v3, s81, v2
	ds_write2_b32 v1, v29, v29 offset1:1
	ds_write2_b32 v2, v29, v29 offset1:1
	;; [unrolled: 1-line block ×3, first 2 shown]
	v_add_u32_e32 v3, s81, v3
	ds_write2_b32 v3, v29, v29 offset1:1
	v_add_u32_e32 v3, s81, v3
	v_add_u32_e32 v0, -8, v0
	ds_write2_b32 v3, v29, v29 offset1:1
	v_add_u32_e32 v3, s81, v3
	s_add_i32 s44, s44, 16
	v_cmp_eq_u32_e32 vcc, 0, v0
	ds_write2_b32 v3, v29, v29 offset1:1
	v_add_u32_e32 v3, s81, v3
	v_add_u32_e32 v1, s80, v1
	v_mov_b32_e32 v2, s44
	s_or_b64 s[54:55], vcc, s[54:55]
	ds_write2_b32 v3, v29, v29 offset1:1
	v_add_u32_e32 v3, s81, v3
	ds_write2_b32 v3, v29, v29 offset1:1
	s_andn2_b64 exec, exec, s[54:55]
	s_cbranch_execnz .LBB3_24
; %bb.25:                               ;   in Loop: Header=BB3_20 Depth=1
	s_or_b64 exec, exec, s[54:55]
.LBB3_26:                               ;   in Loop: Header=BB3_20 Depth=1
	s_or_b64 exec, exec, s[52:53]
	s_and_saveexec_b64 s[52:53], s[16:17]
	s_cbranch_execz .LBB3_29
; %bb.27:                               ;   in Loop: Header=BB3_20 Depth=1
	v_mad_u64_u32 v[0:1], s[54:55], s82, v2, v[32:33]
	s_mov_b64 s[54:55], 0
	v_mov_b32_e32 v1, v57
.LBB3_28:                               ;   Parent Loop BB3_20 Depth=1
                                        ; =>  This Inner Loop Header: Depth=2
	v_add_u32_e32 v1, -1, v1
	v_cmp_eq_u32_e32 vcc, 0, v1
	ds_write2_b32 v0, v29, v29 offset1:1
	s_or_b64 s[54:55], vcc, s[54:55]
	v_add_u32_e32 v0, s81, v0
	s_andn2_b64 exec, exec, s[54:55]
	s_cbranch_execnz .LBB3_28
.LBB3_29:                               ;   in Loop: Header=BB3_20 Depth=1
	s_or_b64 exec, exec, s[52:53]
	s_mov_b64 s[52:53], 0
                                        ; implicit-def: $vgpr1
	s_and_saveexec_b64 s[54:55], s[18:19]
	s_xor_b64 s[54:55], exec, s[54:55]
; %bb.30:                               ;   in Loop: Header=BB3_20 Depth=1
	s_mov_b64 s[52:53], exec
	v_lshlrev_b32_e32 v1, 2, v36
; %bb.31:                               ;   in Loop: Header=BB3_20 Depth=1
	s_or_b64 exec, exec, s[54:55]
	s_orn2_b64 s[52:53], s[52:53], exec
	v_mov_b32_e32 v0, v36
.LBB3_32:                               ;   in Loop: Header=BB3_20 Depth=1
	s_or_b64 exec, exec, s[4:5]
	s_and_saveexec_b64 s[4:5], s[52:53]
	s_cbranch_execz .LBB3_35
; %bb.33:                               ;   in Loop: Header=BB3_20 Depth=1
	v_add_u32_e32 v1, 0x2100, v1
	s_mov_b64 s[52:53], 0
.LBB3_34:                               ;   Parent Loop BB3_20 Depth=1
                                        ; =>  This Inner Loop Header: Depth=2
	v_add_u32_e32 v0, s72, v0
	v_cmp_lt_u32_e32 vcc, s90, v0
	ds_write_b32 v1, v29
	s_or_b64 s[52:53], vcc, s[52:53]
	v_add_u32_e32 v1, s82, v1
	s_andn2_b64 exec, exec, s[52:53]
	s_cbranch_execnz .LBB3_34
.LBB3_35:                               ;   in Loop: Header=BB3_20 Depth=1
	s_or_b64 exec, exec, s[4:5]
	v_cmp_ne_u32_e32 vcc, v41, v40
	s_mul_i32 s92, s91, -11
	s_waitcnt lgkmcnt(0)
	s_barrier
	s_cbranch_vccz .LBB3_72
; %bb.36:                               ;   in Loop: Header=BB3_20 Depth=1
	s_max_i32 s58, s92, 0xffffffeb
	s_add_i32 s58, s58, 21
	s_cmp_lg_u32 s91, 0
	s_cbranch_scc0 .LBB3_73
; %bb.37:                               ;   in Loop: Header=BB3_20 Depth=1
	ds_read_b32 v28, v29 offset:16896
	s_add_i32 s44, s92, 32
	v_mov_b32_e32 v42, v24
	s_and_saveexec_b64 s[4:5], s[8:9]
	s_cbranch_execz .LBB3_75
; %bb.38:                               ;   in Loop: Header=BB3_20 Depth=1
	s_lshl_b32 s56, -1, s44
	s_mov_b64 s[52:53], 0
	v_pk_mov_b32 v[8:9], v[22:23], v[22:23] op_sel:[0,1]
	v_pk_mov_b32 v[42:43], v[20:21], v[20:21] op_sel:[0,1]
	s_branch .LBB3_40
.LBB3_39:                               ;   in Loop: Header=BB3_40 Depth=2
	s_or_b64 exec, exec, s[54:55]
	v_add_u32_e32 v42, s63, v42
	v_ashrrev_i32_e32 v43, 31, v42
	v_mov_b32_e32 v0, s69
	v_add_co_u32_e32 v8, vcc, s70, v42
	v_addc_co_u32_e32 v9, vcc, v0, v43, vcc
	v_cmp_le_u64_e32 vcc, s[34:35], v[8:9]
	s_or_b64 s[52:53], vcc, s[52:53]
	s_andn2_b64 exec, exec, s[52:53]
	s_cbranch_execz .LBB3_74
.LBB3_40:                               ;   Parent Loop BB3_20 Depth=1
                                        ; =>  This Inner Loop Header: Depth=2
	v_lshlrev_b64 v[10:11], 4, v[42:43]
	v_mov_b32_e32 v1, s68
	v_add_co_u32_e32 v0, vcc, s24, v10
	v_addc_co_u32_e32 v1, vcc, v1, v11, vcc
	global_load_dwordx4 v[0:3], v[0:1], off
	s_waitcnt vmcnt(1)
	v_mov_b32_e32 v5, s74
	v_add_co_u32_e32 v4, vcc, s73, v10
	v_addc_co_u32_e32 v5, vcc, v5, v11, vcc
	global_load_dwordx4 v[4:7], v[4:5], off
	s_waitcnt vmcnt(1)
	v_cmp_gt_i32_e32 vcc, 0, v0
	v_cndmask_b32_e64 v37, v61, 0, vcc
	v_xor_b32_e32 v0, v37, v0
	v_and_b32_e32 v37, s56, v0
	s_waitcnt lgkmcnt(0)
	v_cmp_eq_u32_e32 vcc, v37, v28
	s_and_saveexec_b64 s[54:55], vcc
	s_cbranch_execz .LBB3_42
; %bb.41:                               ;   in Loop: Header=BB3_40 Depth=2
	v_bfe_u32 v0, v0, s58, 11
	v_lshlrev_b32_e32 v0, 2, v0
	ds_add_u32 v0, v60 offset:8448
.LBB3_42:                               ;   in Loop: Header=BB3_40 Depth=2
	s_or_b64 exec, exec, s[54:55]
	v_cmp_gt_i32_e32 vcc, 0, v1
	v_cndmask_b32_e64 v0, v61, 0, vcc
	v_xor_b32_e32 v0, v0, v1
	v_and_b32_e32 v1, s56, v0
	v_cmp_eq_u32_e32 vcc, v1, v28
	s_and_saveexec_b64 s[54:55], vcc
	s_cbranch_execz .LBB3_44
; %bb.43:                               ;   in Loop: Header=BB3_40 Depth=2
	v_bfe_u32 v0, v0, s58, 11
	v_lshlrev_b32_e32 v0, 2, v0
	ds_add_u32 v0, v60 offset:8448
.LBB3_44:                               ;   in Loop: Header=BB3_40 Depth=2
	s_or_b64 exec, exec, s[54:55]
	v_cmp_gt_i32_e32 vcc, 0, v2
	v_cndmask_b32_e64 v0, v61, 0, vcc
	v_xor_b32_e32 v0, v0, v2
	v_and_b32_e32 v1, s56, v0
	;; [unrolled: 13-line block ×3, first 2 shown]
	v_cmp_eq_u32_e32 vcc, v1, v28
	s_and_saveexec_b64 s[54:55], vcc
	s_cbranch_execz .LBB3_48
; %bb.47:                               ;   in Loop: Header=BB3_40 Depth=2
	v_bfe_u32 v0, v0, s58, 11
	v_lshlrev_b32_e32 v0, 2, v0
	ds_add_u32 v0, v60 offset:8448
.LBB3_48:                               ;   in Loop: Header=BB3_40 Depth=2
	s_or_b64 exec, exec, s[54:55]
	v_mov_b32_e32 v1, s76
	v_add_co_u32_e32 v0, vcc, s75, v10
	v_addc_co_u32_e32 v1, vcc, v1, v11, vcc
	v_lshlrev_b64 v[2:3], 4, v[8:9]
	v_mov_b32_e32 v8, s68
	v_add_co_u32_e32 v2, vcc, s24, v2
	v_addc_co_u32_e32 v3, vcc, v8, v3, vcc
	global_load_dwordx4 v[8:11], v[0:1], off
	s_nop 0
	global_load_dwordx4 v[0:3], v[2:3], off
	s_waitcnt vmcnt(2)
	v_cmp_gt_i32_e32 vcc, 0, v4
	v_cndmask_b32_e64 v37, v61, 0, vcc
	v_xor_b32_e32 v4, v37, v4
	v_and_b32_e32 v37, s56, v4
	v_cmp_eq_u32_e32 vcc, v37, v28
	s_and_saveexec_b64 s[54:55], vcc
	s_cbranch_execz .LBB3_50
; %bb.49:                               ;   in Loop: Header=BB3_40 Depth=2
	v_bfe_u32 v4, v4, s58, 11
	v_lshlrev_b32_e32 v4, 2, v4
	ds_add_u32 v4, v60 offset:8448
.LBB3_50:                               ;   in Loop: Header=BB3_40 Depth=2
	s_or_b64 exec, exec, s[54:55]
	v_cmp_gt_i32_e32 vcc, 0, v5
	v_cndmask_b32_e64 v4, v61, 0, vcc
	v_xor_b32_e32 v4, v4, v5
	v_and_b32_e32 v5, s56, v4
	v_cmp_eq_u32_e32 vcc, v5, v28
	s_and_saveexec_b64 s[54:55], vcc
	s_cbranch_execz .LBB3_52
; %bb.51:                               ;   in Loop: Header=BB3_40 Depth=2
	v_bfe_u32 v4, v4, s58, 11
	v_lshlrev_b32_e32 v4, 2, v4
	ds_add_u32 v4, v60 offset:8448
.LBB3_52:                               ;   in Loop: Header=BB3_40 Depth=2
	s_or_b64 exec, exec, s[54:55]
	;; [unrolled: 13-line block ×4, first 2 shown]
	s_waitcnt vmcnt(1)
	v_cmp_gt_i32_e32 vcc, 0, v8
	v_cndmask_b32_e64 v4, v61, 0, vcc
	v_xor_b32_e32 v4, v4, v8
	v_and_b32_e32 v5, s56, v4
	v_cmp_eq_u32_e32 vcc, v5, v28
	s_and_saveexec_b64 s[54:55], vcc
	s_cbranch_execz .LBB3_58
; %bb.57:                               ;   in Loop: Header=BB3_40 Depth=2
	v_bfe_u32 v4, v4, s58, 11
	v_lshlrev_b32_e32 v4, 2, v4
	ds_add_u32 v4, v60 offset:8448
.LBB3_58:                               ;   in Loop: Header=BB3_40 Depth=2
	s_or_b64 exec, exec, s[54:55]
	v_cmp_gt_i32_e32 vcc, 0, v9
	v_cndmask_b32_e64 v4, v61, 0, vcc
	v_xor_b32_e32 v4, v4, v9
	v_and_b32_e32 v5, s56, v4
	v_cmp_eq_u32_e32 vcc, v5, v28
	s_and_saveexec_b64 s[54:55], vcc
	s_cbranch_execz .LBB3_60
; %bb.59:                               ;   in Loop: Header=BB3_40 Depth=2
	v_bfe_u32 v4, v4, s58, 11
	v_lshlrev_b32_e32 v4, 2, v4
	ds_add_u32 v4, v60 offset:8448
.LBB3_60:                               ;   in Loop: Header=BB3_40 Depth=2
	s_or_b64 exec, exec, s[54:55]
	;; [unrolled: 13-line block ×4, first 2 shown]
	s_waitcnt vmcnt(0)
	v_cmp_gt_i32_e32 vcc, 0, v0
	v_cndmask_b32_e64 v4, v61, 0, vcc
	v_xor_b32_e32 v0, v4, v0
	v_and_b32_e32 v4, s56, v0
	v_cmp_eq_u32_e32 vcc, v4, v28
	s_and_saveexec_b64 s[54:55], vcc
	s_cbranch_execz .LBB3_66
; %bb.65:                               ;   in Loop: Header=BB3_40 Depth=2
	v_bfe_u32 v0, v0, s58, 11
	v_lshlrev_b32_e32 v0, 2, v0
	ds_add_u32 v0, v60 offset:8448
.LBB3_66:                               ;   in Loop: Header=BB3_40 Depth=2
	s_or_b64 exec, exec, s[54:55]
	v_cmp_gt_i32_e32 vcc, 0, v1
	v_cndmask_b32_e64 v0, v61, 0, vcc
	v_xor_b32_e32 v0, v0, v1
	v_and_b32_e32 v1, s56, v0
	v_cmp_eq_u32_e32 vcc, v1, v28
	s_and_saveexec_b64 s[54:55], vcc
	s_cbranch_execz .LBB3_68
; %bb.67:                               ;   in Loop: Header=BB3_40 Depth=2
	v_bfe_u32 v0, v0, s58, 11
	v_lshlrev_b32_e32 v0, 2, v0
	ds_add_u32 v0, v60 offset:8448
.LBB3_68:                               ;   in Loop: Header=BB3_40 Depth=2
	s_or_b64 exec, exec, s[54:55]
	;; [unrolled: 13-line block ×3, first 2 shown]
	v_cmp_gt_i32_e32 vcc, 0, v3
	v_cndmask_b32_e64 v0, v61, 0, vcc
	v_xor_b32_e32 v0, v0, v3
	v_and_b32_e32 v1, s56, v0
	v_cmp_eq_u32_e32 vcc, v1, v28
	s_and_saveexec_b64 s[54:55], vcc
	s_cbranch_execz .LBB3_39
; %bb.71:                               ;   in Loop: Header=BB3_40 Depth=2
	v_bfe_u32 v0, v0, s58, 11
	v_lshlrev_b32_e32 v0, 2, v0
	ds_add_u32 v0, v60 offset:8448
	s_branch .LBB3_39
.LBB3_72:                               ;   in Loop: Header=BB3_20 Depth=1
	s_mov_b64 s[52:53], -1
	s_mov_b64 s[4:5], 0
                                        ; implicit-def: $sgpr91
                                        ; implicit-def: $vgpr38_vgpr39
                                        ; implicit-def: $sgpr50_sgpr51
	s_branch .LBB3_19
.LBB3_73:                               ;   in Loop: Header=BB3_20 Depth=1
	s_mov_b64 s[52:53], 0
                                        ; implicit-def: $vgpr0
	s_cbranch_execnz .LBB3_94
	s_branch .LBB3_106
.LBB3_74:                               ;   in Loop: Header=BB3_20 Depth=1
	s_or_b64 exec, exec, s[52:53]
.LBB3_75:                               ;   in Loop: Header=BB3_20 Depth=1
	s_or_b64 exec, exec, s[4:5]
	v_cmp_gt_i32_e32 vcc, s34, v42
	s_and_saveexec_b64 s[4:5], vcc
	s_cbranch_execz .LBB3_86
; %bb.76:                               ;   in Loop: Header=BB3_20 Depth=1
	s_lshl_b32 s56, -1, s44
	s_mov_b64 s[52:53], 0
	s_branch .LBB3_78
.LBB3_77:                               ;   in Loop: Header=BB3_78 Depth=2
	s_or_b64 exec, exec, s[54:55]
	v_add_u32_e32 v42, s30, v42
	v_cmp_le_i32_e32 vcc, s34, v42
	s_or_b64 s[52:53], vcc, s[52:53]
	s_andn2_b64 exec, exec, s[52:53]
	s_cbranch_execz .LBB3_86
.LBB3_78:                               ;   Parent Loop BB3_20 Depth=1
                                        ; =>  This Inner Loop Header: Depth=2
	v_ashrrev_i32_e32 v43, 31, v42
	v_lshlrev_b64 v[0:1], 4, v[42:43]
	s_waitcnt vmcnt(0)
	v_mov_b32_e32 v2, s68
	v_add_co_u32_e32 v0, vcc, s24, v0
	v_addc_co_u32_e32 v1, vcc, v2, v1, vcc
	global_load_dwordx4 v[0:3], v[0:1], off
	s_waitcnt vmcnt(0)
	v_cmp_gt_i32_e32 vcc, 0, v0
	v_cndmask_b32_e64 v4, v61, 0, vcc
	v_xor_b32_e32 v0, v4, v0
	v_and_b32_e32 v4, s56, v0
	s_waitcnt lgkmcnt(0)
	v_cmp_eq_u32_e32 vcc, v4, v28
	s_and_saveexec_b64 s[54:55], vcc
	s_cbranch_execz .LBB3_80
; %bb.79:                               ;   in Loop: Header=BB3_78 Depth=2
	v_bfe_u32 v0, v0, s58, 11
	v_lshlrev_b32_e32 v0, 2, v0
	ds_add_u32 v0, v60 offset:8448
.LBB3_80:                               ;   in Loop: Header=BB3_78 Depth=2
	s_or_b64 exec, exec, s[54:55]
	v_cmp_gt_i32_e32 vcc, 0, v1
	v_cndmask_b32_e64 v0, v61, 0, vcc
	v_xor_b32_e32 v0, v0, v1
	v_and_b32_e32 v1, s56, v0
	v_cmp_eq_u32_e32 vcc, v1, v28
	s_and_saveexec_b64 s[54:55], vcc
	s_cbranch_execz .LBB3_82
; %bb.81:                               ;   in Loop: Header=BB3_78 Depth=2
	v_bfe_u32 v0, v0, s58, 11
	v_lshlrev_b32_e32 v0, 2, v0
	ds_add_u32 v0, v60 offset:8448
.LBB3_82:                               ;   in Loop: Header=BB3_78 Depth=2
	s_or_b64 exec, exec, s[54:55]
	v_cmp_gt_i32_e32 vcc, 0, v2
	v_cndmask_b32_e64 v0, v61, 0, vcc
	v_xor_b32_e32 v0, v0, v2
	v_and_b32_e32 v1, s56, v0
	;; [unrolled: 13-line block ×3, first 2 shown]
	v_cmp_eq_u32_e32 vcc, v1, v28
	s_and_saveexec_b64 s[54:55], vcc
	s_cbranch_execz .LBB3_77
; %bb.85:                               ;   in Loop: Header=BB3_78 Depth=2
	v_bfe_u32 v0, v0, s58, 11
	v_lshlrev_b32_e32 v0, 2, v0
	ds_add_u32 v0, v60 offset:8448
	s_branch .LBB3_77
.LBB3_86:                               ;   in Loop: Header=BB3_20 Depth=1
	s_or_b64 exec, exec, s[4:5]
	s_and_saveexec_b64 s[4:5], s[2:3]
	s_cbranch_execz .LBB3_89
; %bb.87:                               ;   in Loop: Header=BB3_20 Depth=1
	global_load_dword v0, v[16:17], off
	s_lshl_b32 s52, -1, s44
	s_waitcnt vmcnt(0)
	v_cmp_gt_i32_e32 vcc, 0, v0
	v_cndmask_b32_e64 v1, v61, 0, vcc
	v_xor_b32_e32 v0, v1, v0
	v_and_b32_e32 v1, s52, v0
	s_waitcnt lgkmcnt(0)
	v_cmp_eq_u32_e32 vcc, v1, v28
	s_and_b64 exec, exec, vcc
	s_cbranch_execz .LBB3_89
; %bb.88:                               ;   in Loop: Header=BB3_20 Depth=1
	v_bfe_u32 v0, v0, s58, 11
	v_lshlrev_b32_e32 v0, 2, v0
	ds_add_u32 v0, v60 offset:8448
.LBB3_89:                               ;   in Loop: Header=BB3_20 Depth=1
	s_or_b64 exec, exec, s[4:5]
	s_mov_b64 s[4:5], 0
	s_mov_b64 s[52:53], 0
                                        ; implicit-def: $vgpr0
	s_and_saveexec_b64 s[54:55], s[0:1]
	s_cbranch_execz .LBB3_93
; %bb.90:                               ;   in Loop: Header=BB3_20 Depth=1
	global_load_dword v0, v[12:13], off
	s_lshl_b32 s44, -1, s44
	s_waitcnt vmcnt(0)
	v_cmp_gt_i32_e32 vcc, 0, v0
	v_cndmask_b32_e64 v1, v61, 0, vcc
	v_xor_b32_e32 v1, v1, v0
	v_and_b32_e32 v0, s44, v1
	s_waitcnt lgkmcnt(0)
	v_cmp_eq_u32_e32 vcc, v0, v28
                                        ; implicit-def: $vgpr0
	s_and_saveexec_b64 s[56:57], vcc
	s_xor_b64 s[56:57], exec, s[56:57]
; %bb.91:                               ;   in Loop: Header=BB3_20 Depth=1
	s_mov_b64 s[52:53], exec
	v_bfe_u32 v0, v1, s58, 11
; %bb.92:                               ;   in Loop: Header=BB3_20 Depth=1
	s_or_b64 exec, exec, s[56:57]
	s_and_b64 s[52:53], s[52:53], exec
.LBB3_93:                               ;   in Loop: Header=BB3_20 Depth=1
	s_or_b64 exec, exec, s[54:55]
	s_and_b64 vcc, exec, s[4:5]
	s_cbranch_vccz .LBB3_106
.LBB3_94:                               ;   in Loop: Header=BB3_20 Depth=1
	v_mov_b32_e32 v8, v24
	s_and_saveexec_b64 s[54:55], s[8:9]
	s_cbranch_execz .LBB3_98
; %bb.95:                               ;   in Loop: Header=BB3_20 Depth=1
	s_mov_b64 s[56:57], 0
	v_pk_mov_b32 v[10:11], v[22:23], v[22:23] op_sel:[0,1]
	v_pk_mov_b32 v[8:9], v[20:21], v[20:21] op_sel:[0,1]
.LBB3_96:                               ;   Parent Loop BB3_20 Depth=1
                                        ; =>  This Inner Loop Header: Depth=2
	s_waitcnt vmcnt(0)
	v_lshlrev_b64 v[4:5], 4, v[8:9]
	v_mov_b32_e32 v9, s68
	v_add_co_u32_e32 v0, vcc, s24, v4
	v_addc_co_u32_e32 v1, vcc, v9, v5, vcc
	global_load_dwordx4 v[0:3], v[0:1], off
	s_waitcnt lgkmcnt(0)
	v_mov_b32_e32 v28, s74
	v_lshlrev_b64 v[6:7], 4, v[10:11]
	v_add_co_u32_e32 v10, vcc, s73, v4
	v_addc_co_u32_e32 v11, vcc, v28, v5, vcc
	global_load_dwordx4 v[42:45], v[10:11], off
	v_mov_b32_e32 v37, s76
	v_add_co_u32_e32 v4, vcc, s75, v4
	v_addc_co_u32_e32 v5, vcc, v37, v5, vcc
	v_add_co_u32_e32 v46, vcc, s24, v6
	v_addc_co_u32_e32 v47, vcc, v9, v7, vcc
	v_add_u32_e32 v8, s63, v8
	v_mov_b32_e32 v11, s69
	s_waitcnt vmcnt(1)
	v_cmp_gt_i32_e32 vcc, 0, v0
	v_cndmask_b32_e64 v6, v61, 0, vcc
	v_cmp_gt_i32_e32 vcc, 0, v1
	v_cndmask_b32_e64 v7, v61, 0, vcc
	;; [unrolled: 2-line block ×4, first 2 shown]
	v_xor_b32_e32 v0, v6, v0
	v_xor_b32_e32 v1, v7, v1
	v_xor_b32_e32 v2, v9, v2
	v_xor_b32_e32 v3, v10, v3
	v_bfe_u32 v0, v0, s58, 11
	v_bfe_u32 v1, v1, s58, 11
	;; [unrolled: 1-line block ×4, first 2 shown]
	v_lshlrev_b32_e32 v0, 2, v0
	v_lshlrev_b32_e32 v1, 2, v1
	;; [unrolled: 1-line block ×4, first 2 shown]
	ds_add_u32 v0, v60 offset:8448
	ds_add_u32 v1, v60 offset:8448
	;; [unrolled: 1-line block ×4, first 2 shown]
	global_load_dwordx4 v[4:7], v[4:5], off
	s_nop 0
	global_load_dwordx4 v[0:3], v[46:47], off
	s_waitcnt vmcnt(2)
	v_cmp_gt_i32_e64 s[4:5], 0, v42
	v_cndmask_b32_e64 v28, v61, 0, s[4:5]
	v_cmp_gt_i32_e64 s[4:5], 0, v43
	v_cndmask_b32_e64 v37, v61, 0, s[4:5]
	;; [unrolled: 2-line block ×4, first 2 shown]
	v_xor_b32_e32 v28, v28, v42
	v_xor_b32_e32 v37, v37, v43
	;; [unrolled: 1-line block ×4, first 2 shown]
	v_bfe_u32 v28, v28, s58, 11
	v_bfe_u32 v37, v37, s58, 11
	;; [unrolled: 1-line block ×4, first 2 shown]
	v_lshlrev_b32_e32 v28, 2, v28
	v_lshlrev_b32_e32 v37, 2, v37
	;; [unrolled: 1-line block ×4, first 2 shown]
	ds_add_u32 v28, v60 offset:8448
	ds_add_u32 v37, v60 offset:8448
	;; [unrolled: 1-line block ×4, first 2 shown]
	v_ashrrev_i32_e32 v9, 31, v8
	v_add_co_u32_e32 v10, vcc, s70, v8
	v_addc_co_u32_e32 v11, vcc, v11, v9, vcc
	v_cmp_le_u64_e32 vcc, s[34:35], v[10:11]
	s_or_b64 s[56:57], vcc, s[56:57]
	s_waitcnt vmcnt(1)
	v_cmp_gt_i32_e64 s[4:5], 0, v4
	v_cndmask_b32_e64 v28, v61, 0, s[4:5]
	v_cmp_gt_i32_e64 s[4:5], 0, v5
	v_cndmask_b32_e64 v37, v61, 0, s[4:5]
	;; [unrolled: 2-line block ×4, first 2 shown]
	s_waitcnt vmcnt(0)
	v_cmp_gt_i32_e64 s[4:5], 0, v0
	v_cndmask_b32_e64 v43, v61, 0, s[4:5]
	v_cmp_gt_i32_e64 s[4:5], 0, v1
	v_cndmask_b32_e64 v44, v61, 0, s[4:5]
	;; [unrolled: 2-line block ×4, first 2 shown]
	v_xor_b32_e32 v4, v28, v4
	v_xor_b32_e32 v5, v37, v5
	;; [unrolled: 1-line block ×8, first 2 shown]
	v_bfe_u32 v4, v4, s58, 11
	v_bfe_u32 v5, v5, s58, 11
	;; [unrolled: 1-line block ×8, first 2 shown]
	v_lshlrev_b32_e32 v4, 2, v4
	v_lshlrev_b32_e32 v5, 2, v5
	;; [unrolled: 1-line block ×8, first 2 shown]
	ds_add_u32 v4, v60 offset:8448
	ds_add_u32 v5, v60 offset:8448
	;; [unrolled: 1-line block ×8, first 2 shown]
	s_andn2_b64 exec, exec, s[56:57]
	s_cbranch_execnz .LBB3_96
; %bb.97:                               ;   in Loop: Header=BB3_20 Depth=1
	s_or_b64 exec, exec, s[56:57]
.LBB3_98:                               ;   in Loop: Header=BB3_20 Depth=1
	s_or_b64 exec, exec, s[54:55]
	v_cmp_gt_i32_e32 vcc, s34, v8
	s_and_saveexec_b64 s[4:5], vcc
	s_cbranch_execz .LBB3_101
; %bb.99:                               ;   in Loop: Header=BB3_20 Depth=1
	s_mov_b64 s[54:55], 0
.LBB3_100:                              ;   Parent Loop BB3_20 Depth=1
                                        ; =>  This Inner Loop Header: Depth=2
	v_ashrrev_i32_e32 v9, 31, v8
	v_lshlrev_b64 v[0:1], 4, v[8:9]
	s_waitcnt vmcnt(0)
	v_mov_b32_e32 v2, s68
	v_add_co_u32_e32 v0, vcc, s24, v0
	v_addc_co_u32_e32 v1, vcc, v2, v1, vcc
	global_load_dwordx4 v[0:3], v[0:1], off
	v_add_u32_e32 v8, s30, v8
	s_waitcnt vmcnt(0)
	v_cmp_gt_i32_e32 vcc, 0, v0
	v_cndmask_b32_e64 v4, v61, 0, vcc
	v_cmp_gt_i32_e32 vcc, 0, v1
	v_cndmask_b32_e64 v5, v61, 0, vcc
	;; [unrolled: 2-line block ×3, first 2 shown]
	v_cmp_gt_i32_e32 vcc, 0, v3
	v_xor_b32_e32 v0, v4, v0
	v_cndmask_b32_e64 v7, v61, 0, vcc
	v_xor_b32_e32 v1, v5, v1
	v_xor_b32_e32 v2, v6, v2
	v_bfe_u32 v0, v0, s58, 11
	v_xor_b32_e32 v3, v7, v3
	v_bfe_u32 v1, v1, s58, 11
	v_bfe_u32 v2, v2, s58, 11
	v_lshlrev_b32_e32 v0, 2, v0
	v_bfe_u32 v3, v3, s58, 11
	v_lshlrev_b32_e32 v1, 2, v1
	v_lshlrev_b32_e32 v2, 2, v2
	ds_add_u32 v0, v60 offset:8448
	ds_add_u32 v1, v60 offset:8448
	;; [unrolled: 1-line block ×3, first 2 shown]
	v_lshlrev_b32_e32 v0, 2, v3
	ds_add_u32 v0, v60 offset:8448
	v_cmp_le_i32_e32 vcc, s34, v8
	s_or_b64 s[54:55], vcc, s[54:55]
	s_andn2_b64 exec, exec, s[54:55]
	s_cbranch_execnz .LBB3_100
.LBB3_101:                              ;   in Loop: Header=BB3_20 Depth=1
	s_or_b64 exec, exec, s[4:5]
	s_and_saveexec_b64 s[4:5], s[2:3]
	s_cbranch_execz .LBB3_103
; %bb.102:                              ;   in Loop: Header=BB3_20 Depth=1
	global_load_dword v0, v[16:17], off
	s_waitcnt vmcnt(0)
	v_cmp_gt_i32_e32 vcc, 0, v0
	v_cndmask_b32_e64 v1, v61, 0, vcc
	v_xor_b32_e32 v0, v1, v0
	v_bfe_u32 v0, v0, s58, 11
	v_lshlrev_b32_e32 v0, 2, v0
	ds_add_u32 v0, v60 offset:8448
.LBB3_103:                              ;   in Loop: Header=BB3_20 Depth=1
	s_or_b64 exec, exec, s[4:5]
                                        ; implicit-def: $vgpr0
	s_and_saveexec_b64 s[4:5], s[0:1]
	s_cbranch_execz .LBB3_105
; %bb.104:                              ;   in Loop: Header=BB3_20 Depth=1
	global_load_dword v0, v[12:13], off
	s_or_b64 s[52:53], s[52:53], exec
	s_waitcnt vmcnt(0)
	v_cmp_gt_i32_e32 vcc, 0, v0
	v_cndmask_b32_e64 v1, v61, 0, vcc
	v_xor_b32_e32 v0, v1, v0
	v_bfe_u32 v0, v0, s58, 11
.LBB3_105:                              ;   in Loop: Header=BB3_20 Depth=1
	s_or_b64 exec, exec, s[4:5]
.LBB3_106:                              ;   in Loop: Header=BB3_20 Depth=1
	s_and_saveexec_b64 s[4:5], s[52:53]
	s_cbranch_execz .LBB3_108
; %bb.107:                              ;   in Loop: Header=BB3_20 Depth=1
	v_lshlrev_b32_e32 v0, 2, v0
	ds_add_u32 v0, v60 offset:8448
.LBB3_108:                              ;   in Loop: Header=BB3_20 Depth=1
	s_or_b64 exec, exec, s[4:5]
	s_mov_b64 s[4:5], 0
	s_waitcnt vmcnt(0)
	v_mov_b32_e32 v2, v32
	v_pk_mov_b32 v[0:1], v[38:39], v[38:39] op_sel:[0,1]
	v_mov_b32_e32 v3, v26
	s_waitcnt lgkmcnt(0)
	s_barrier
	s_branch .LBB3_110
.LBB3_109:                              ;   in Loop: Header=BB3_110 Depth=2
	s_or_b64 exec, exec, s[52:53]
	v_mov_b32_e32 v4, s83
	v_add_co_u32_e32 v0, vcc, s82, v0
	v_add_u32_e32 v3, s72, v3
	v_addc_co_u32_e32 v1, vcc, v1, v4, vcc
	v_cmp_lt_u32_e32 vcc, s90, v3
	s_or_b64 s[4:5], vcc, s[4:5]
	v_add_u32_e32 v2, s82, v2
	s_andn2_b64 exec, exec, s[4:5]
	s_cbranch_execz .LBB3_112
.LBB3_110:                              ;   Parent Loop BB3_20 Depth=1
                                        ; =>  This Inner Loop Header: Depth=2
	ds_read_b32 v4, v2
	s_waitcnt lgkmcnt(0)
	v_cmp_ne_u32_e32 vcc, 0, v4
	s_and_saveexec_b64 s[52:53], vcc
	s_cbranch_execz .LBB3_109
; %bb.111:                              ;   in Loop: Header=BB3_110 Depth=2
	global_atomic_add v[0:1], v4, off
	s_branch .LBB3_109
.LBB3_112:                              ;   in Loop: Header=BB3_20 Depth=1
	s_or_b64 exec, exec, s[4:5]
	s_mov_b64 s[4:5], 0
	s_barrier
	s_and_saveexec_b64 s[52:53], s[22:23]
	s_cbranch_execz .LBB3_114
; %bb.113:                              ;   in Loop: Header=BB3_20 Depth=1
	v_mov_b32_e32 v0, s77
	global_atomic_inc v0, v29, v0, s[28:29] offset:256 glc
	s_waitcnt vmcnt(0)
	v_cmp_eq_u32_e32 vcc, s77, v0
	s_and_b64 s[4:5], vcc, exec
.LBB3_114:                              ;   in Loop: Header=BB3_20 Depth=1
	s_or_b64 exec, exec, s[52:53]
	global_load_dword v0, v29, s[40:41] offset:14
	v_cndmask_b32_e64 v1, 0, 1, s[4:5]
	s_waitcnt vmcnt(0)
	v_readfirstlane_b32 s4, v0
	v_or_b32_dpp v1, v1, v1 row_shl:1 row_mask:0xf bank_mask:0xf bound_ctrl:1
	s_lshr_b32 s52, s4, 16
	s_and_b32 s4, s4, 0xffff
	v_or_b32_dpp v1, v1, v1 row_shl:2 row_mask:0xf bank_mask:0xf bound_ctrl:1
	s_mul_i32 s53, s78, s4
	s_ashr_i32 s53, s53, 8
	v_or_b32_dpp v1, v1, v1 row_shl:4 row_mask:0xf bank_mask:0xf bound_ctrl:1
	s_mul_i32 s52, s53, s52
	s_add_i32 s52, s52, 63
	v_or_b32_dpp v1, v1, v1 row_shl:8 row_mask:0xf bank_mask:0xf bound_ctrl:1
	s_bitcmp1_b32 exec_hi, 0
	s_nop 0
	v_mov_b32_dpp v2, v1 wave_shl:1 row_mask:0xf bank_mask:0xf bound_ctrl:1
	s_nop 1
	v_or_b32_dpp v1, v2, v1 row_mirror row_mask:0xf bank_mask:0xf bound_ctrl:1
	v_readlane_b32 s5, v1, 32
	v_readlane_b32 s44, v1, 0
	s_cselect_b32 s5, s5, 0
	s_or_b32 s44, s5, s44
	s_andn2_b32 s52, s52, 63
	s_cmp_eq_u32 s52, 64
	v_mov_b32_e32 v0, s44
	s_cbranch_scc1 .LBB3_121
; %bb.115:                              ;   in Loop: Header=BB3_20 Depth=1
	v_mad_u32_u24 v0, v25, s4, v51
	v_mad_u64_u32 v[0:1], s[4:5], v0, s72, v[26:27]
	v_lshrrev_b32_e32 v1, 6, v0
	v_or_b32_e32 v1, v62, v1
	v_cmp_eq_u32_e32 vcc, 0, v1
	s_and_saveexec_b64 s[4:5], vcc
	s_cbranch_execz .LBB3_117
; %bb.116:                              ;   in Loop: Header=BB3_20 Depth=1
	v_mov_b32_e32 v1, s44
	ds_write_b32 v29, v1 offset:16640
.LBB3_117:                              ;   in Loop: Header=BB3_20 Depth=1
	s_or_b64 exec, exec, s[4:5]
	v_cmp_eq_u32_e32 vcc, 0, v62
	v_cmp_lt_u32_e64 s[4:5], 63, v0
	s_and_b64 s[52:53], s[4:5], vcc
	s_waitcnt lgkmcnt(0)
	s_barrier
	s_and_saveexec_b64 s[4:5], s[52:53]
	s_cbranch_execz .LBB3_120
; %bb.118:                              ;   in Loop: Header=BB3_20 Depth=1
	v_mbcnt_lo_u32_b32 v0, exec_lo, 0
	v_mbcnt_hi_u32_b32 v0, exec_hi, v0
	v_cmp_eq_u32_e32 vcc, 0, v0
	s_and_b64 exec, exec, vcc
	s_cbranch_execz .LBB3_120
; %bb.119:                              ;   in Loop: Header=BB3_20 Depth=1
	v_mov_b32_e32 v0, s44
	ds_or_b32 v29, v0 offset:16640
.LBB3_120:                              ;   in Loop: Header=BB3_20 Depth=1
	s_or_b64 exec, exec, s[4:5]
	s_waitcnt lgkmcnt(0)
	s_barrier
	ds_read_b32 v0, v29 offset:16640
	s_waitcnt lgkmcnt(0)
	s_barrier
.LBB3_121:                              ;   in Loop: Header=BB3_20 Depth=1
	v_cmp_eq_u32_e32 vcc, 0, v0
	s_cbranch_vccnz .LBB3_125
; %bb.122:                              ;   in Loop: Header=BB3_20 Depth=1
	s_and_saveexec_b64 s[4:5], s[22:23]
	s_cbranch_execz .LBB3_124
; %bb.123:                              ;   in Loop: Header=BB3_20 Depth=1
	s_add_i32 s44, s91, 1
	v_pk_mov_b32 v[0:1], s[28:29], s[28:29] op_sel:[0,1]
	v_mov_b32_e32 v2, s44
	buffer_wbl2
	flat_store_dword v[0:1], v2 offset:640
.LBB3_124:                              ;   in Loop: Header=BB3_20 Depth=1
	s_or_b64 exec, exec, s[4:5]
	s_cbranch_execz .LBB3_126
	s_branch .LBB3_131
.LBB3_125:                              ;   in Loop: Header=BB3_20 Depth=1
.LBB3_126:                              ;   in Loop: Header=BB3_20 Depth=1
	s_and_saveexec_b64 s[4:5], s[22:23]
	s_cbranch_execz .LBB3_130
; %bb.127:                              ;   in Loop: Header=BB3_20 Depth=1
	v_pk_mov_b32 v[0:1], s[28:29], s[28:29] op_sel:[0,1]
	flat_load_dword v0, v[0:1] offset:640 glc
	s_waitcnt vmcnt(0) lgkmcnt(0)
	buffer_invl2
	buffer_wbinvl1_vol
	v_cmp_ge_u32_e32 vcc, s91, v0
	s_and_b64 exec, exec, vcc
	s_cbranch_execz .LBB3_130
; %bb.128:                              ;   in Loop: Header=BB3_20 Depth=1
	s_mov_b64 s[52:53], 0
.LBB3_129:                              ;   Parent Loop BB3_20 Depth=1
                                        ; =>  This Inner Loop Header: Depth=2
	v_pk_mov_b32 v[0:1], s[28:29], s[28:29] op_sel:[0,1]
	s_sleep 1
	flat_load_dword v0, v[0:1] offset:640 glc
	s_waitcnt vmcnt(0) lgkmcnt(0)
	buffer_invl2
	buffer_wbinvl1_vol
	v_readfirstlane_b32 s44, v0
	s_cmp_gt_u32 s44, s91
	s_cselect_b64 s[54:55], -1, 0
	s_and_b64 s[54:55], exec, s[54:55]
	s_or_b64 s[52:53], s[54:55], s[52:53]
	s_andn2_b64 exec, exec, s[52:53]
	s_cbranch_execnz .LBB3_129
.LBB3_130:                              ;   in Loop: Header=BB3_20 Depth=1
	s_or_b64 exec, exec, s[4:5]
	s_waitcnt lgkmcnt(0)
	s_barrier
.LBB3_131:                              ;   in Loop: Header=BB3_20 Depth=1
	s_mov_b64 s[52:53], -1
	v_mov_b32_e32 v2, v26
	v_pk_mov_b32 v[0:1], v[30:31], v[30:31] op_sel:[0,1]
	v_mov_b32_e32 v3, v30
	s_and_saveexec_b64 s[4:5], s[48:49]
	s_cbranch_execz .LBB3_142
; %bb.132:                              ;   in Loop: Header=BB3_20 Depth=1
	s_lshl_b32 s44, s91, 11
	s_lshl_b64 s[52:53], s[44:45], 2
	s_add_u32 s44, s42, s52
	s_addc_u32 s56, s43, s53
	v_mov_b32_e32 v5, 0
	s_and_saveexec_b64 s[52:53], s[14:15]
	s_cbranch_execz .LBB3_136
; %bb.133:                              ;   in Loop: Header=BB3_20 Depth=1
	s_mov_b32 s57, 0
	s_mov_b64 s[54:55], 0
	v_mov_b32_e32 v2, v58
	v_mov_b32_e32 v3, v32
	v_pk_mov_b32 v[0:1], v[38:39], v[38:39] op_sel:[0,1]
	v_mov_b32_e32 v4, v26
.LBB3_134:                              ;   Parent Loop BB3_20 Depth=1
                                        ; =>  This Inner Loop Header: Depth=2
	global_load_dwordx2 v[6:7], v[0:1], off
	v_add_u32_e32 v28, s79, v4
	v_mov_b32_e32 v5, s56
	v_add_u32_e32 v8, s81, v3
	v_add_u32_e32 v2, -8, v2
	s_add_i32 s57, s57, 16
	s_waitcnt vmcnt(0)
	ds_write2_b32 v3, v6, v7 offset1:1
	v_lshlrev_b64 v[6:7], 2, v[28:29]
	v_add_co_u32_e32 v6, vcc, s44, v6
	v_addc_co_u32_e32 v7, vcc, v5, v7, vcc
	global_load_dwordx2 v[6:7], v[6:7], off
	v_add_u32_e32 v28, s82, v4
	v_add_u32_e32 v3, s80, v3
	s_waitcnt vmcnt(0)
	ds_write2_b32 v8, v6, v7 offset1:1
	v_lshlrev_b64 v[6:7], 2, v[28:29]
	v_add_co_u32_e32 v6, vcc, s44, v6
	v_addc_co_u32_e32 v7, vcc, v5, v7, vcc
	global_load_dwordx2 v[6:7], v[6:7], off
	v_add_u32_e32 v8, s81, v8
	v_add_u32_e32 v28, s85, v4
	;; [unrolled: 8-line block ×6, first 2 shown]
	v_add_u32_e32 v4, s84, v4
	s_waitcnt vmcnt(0)
	ds_write2_b32 v8, v6, v7 offset1:1
	v_lshlrev_b64 v[6:7], 2, v[28:29]
	v_add_co_u32_e32 v6, vcc, s44, v6
	v_addc_co_u32_e32 v7, vcc, v5, v7, vcc
	global_load_dwordx2 v[6:7], v[6:7], off
	v_add_u32_e32 v5, s81, v8
	v_add_co_u32_e32 v0, vcc, s80, v0
	s_waitcnt vmcnt(0)
	ds_write2_b32 v5, v6, v7 offset1:1
	v_mov_b32_e32 v5, s89
	v_addc_co_u32_e32 v1, vcc, v1, v5, vcc
	v_cmp_eq_u32_e32 vcc, 0, v2
	s_or_b64 s[54:55], vcc, s[54:55]
	v_mov_b32_e32 v5, s57
	s_andn2_b64 exec, exec, s[54:55]
	s_cbranch_execnz .LBB3_134
; %bb.135:                              ;   in Loop: Header=BB3_20 Depth=1
	s_or_b64 exec, exec, s[54:55]
.LBB3_136:                              ;   in Loop: Header=BB3_20 Depth=1
	s_or_b64 exec, exec, s[52:53]
	s_and_saveexec_b64 s[52:53], s[16:17]
	s_cbranch_execz .LBB3_139
; %bb.137:                              ;   in Loop: Header=BB3_20 Depth=1
	v_add_u32_e32 v28, v26, v5
	v_lshl_add_u32 v0, v28, 2, v63
	s_mov_b64 s[54:55], 0
	v_mov_b32_e32 v1, v57
.LBB3_138:                              ;   Parent Loop BB3_20 Depth=1
                                        ; =>  This Inner Loop Header: Depth=2
	v_lshlrev_b64 v[2:3], 2, v[28:29]
	v_mov_b32_e32 v4, s56
	v_add_co_u32_e32 v2, vcc, s44, v2
	v_addc_co_u32_e32 v3, vcc, v4, v3, vcc
	global_load_dwordx2 v[2:3], v[2:3], off
	v_add_u32_e32 v1, -1, v1
	v_cmp_eq_u32_e32 vcc, 0, v1
	v_add_u32_e32 v28, s79, v28
	s_or_b64 s[54:55], vcc, s[54:55]
	s_waitcnt vmcnt(0)
	ds_write2_b32 v0, v2, v3 offset1:1
	v_add_u32_e32 v0, s81, v0
	s_andn2_b64 exec, exec, s[54:55]
	s_cbranch_execnz .LBB3_138
.LBB3_139:                              ;   in Loop: Header=BB3_20 Depth=1
	s_or_b64 exec, exec, s[52:53]
	s_mov_b64 s[52:53], 0
                                        ; implicit-def: $vgpr0_vgpr1
                                        ; implicit-def: $vgpr3
	s_and_saveexec_b64 s[54:55], s[18:19]
	s_xor_b64 s[54:55], exec, s[54:55]
; %bb.140:                              ;   in Loop: Header=BB3_20 Depth=1
	v_mov_b32_e32 v37, v29
	s_mov_b64 s[52:53], exec
	v_lshlrev_b64 v[0:1], 2, v[36:37]
	v_lshlrev_b32_e32 v3, 2, v36
; %bb.141:                              ;   in Loop: Header=BB3_20 Depth=1
	s_or_b64 exec, exec, s[54:55]
	s_orn2_b64 s[52:53], s[52:53], exec
	v_mov_b32_e32 v2, v36
.LBB3_142:                              ;   in Loop: Header=BB3_20 Depth=1
	s_or_b64 exec, exec, s[4:5]
	s_and_saveexec_b64 s[4:5], s[52:53]
	s_cbranch_execz .LBB3_145
; %bb.143:                              ;   in Loop: Header=BB3_20 Depth=1
	v_mov_b32_e32 v4, s51
	v_add_co_u32_e32 v0, vcc, s50, v0
	v_addc_co_u32_e32 v1, vcc, v4, v1, vcc
	v_add_u32_e32 v3, 0x2100, v3
	s_mov_b64 s[52:53], 0
.LBB3_144:                              ;   Parent Loop BB3_20 Depth=1
                                        ; =>  This Inner Loop Header: Depth=2
	global_load_dword v4, v[0:1], off
	v_mov_b32_e32 v5, s83
	v_add_co_u32_e32 v0, vcc, s82, v0
	v_add_u32_e32 v2, s72, v2
	v_addc_co_u32_e32 v1, vcc, v1, v5, vcc
	v_cmp_lt_u32_e32 vcc, s90, v2
	s_or_b64 s[52:53], vcc, s[52:53]
	s_waitcnt vmcnt(0)
	ds_write_b32 v3, v4
	v_add_u32_e32 v3, s82, v3
	s_andn2_b64 exec, exec, s[52:53]
	s_cbranch_execnz .LBB3_144
.LBB3_145:                              ;   in Loop: Header=BB3_20 Depth=1
	s_or_b64 exec, exec, s[4:5]
	s_waitcnt lgkmcnt(0)
	s_barrier
	flat_load_dword v0, v[32:33] glc
	s_waitcnt vmcnt(0)
	flat_load_dword v1, v[34:35] glc
	s_waitcnt vmcnt(0) lgkmcnt(0)
	ds_write_b32 v52, v0
	ds_write_b32 v53, v1 offset:4096
	s_waitcnt lgkmcnt(0)
	s_barrier
	ds_read2_b32 v[0:1], v54 offset1:1
	s_waitcnt lgkmcnt(0)
	s_barrier
	v_add_u32_e32 v2, v1, v0
	ds_write_b32 v52, v2
	s_waitcnt lgkmcnt(0)
	s_barrier
	s_and_saveexec_b64 s[4:5], s[10:11]
	s_cbranch_execz .LBB3_147
; %bb.146:                              ;   in Loop: Header=BB3_20 Depth=1
	ds_read2_b32 v[4:5], v55 offset1:1
	ds_read2_b32 v[6:7], v55 offset0:2 offset1:3
	ds_read2_b32 v[8:9], v55 offset0:4 offset1:5
	;; [unrolled: 1-line block ×7, first 2 shown]
	s_waitcnt lgkmcnt(7)
	v_add_u32_e32 v3, v5, v4
	s_waitcnt lgkmcnt(6)
	v_add3_u32 v3, v3, v6, v7
	s_waitcnt lgkmcnt(5)
	v_add3_u32 v3, v3, v8, v9
	;; [unrolled: 2-line block ×7, first 2 shown]
	v_and_b32_e32 v28, 15, v62
	v_cmp_ne_u32_e32 vcc, 0, v28
	v_mov_b32_dpp v37, v3 row_shr:1 row_mask:0xf bank_mask:0xf
	v_cndmask_b32_e32 v37, 0, v37, vcc
	v_add_u32_e32 v3, v37, v3
	v_cmp_lt_u32_e32 vcc, 1, v28
	s_nop 0
	v_mov_b32_dpp v37, v3 row_shr:2 row_mask:0xf bank_mask:0xf
	v_cndmask_b32_e32 v37, 0, v37, vcc
	v_add_u32_e32 v3, v3, v37
	v_cmp_lt_u32_e32 vcc, 3, v28
	s_nop 0
	;; [unrolled: 5-line block ×3, first 2 shown]
	v_mov_b32_dpp v37, v3 row_shr:8 row_mask:0xf bank_mask:0xf
	v_cndmask_b32_e32 v28, 0, v37, vcc
	v_add_u32_e32 v3, v3, v28
	v_bfe_i32 v37, v62, 4, 1
	v_cmp_lt_u32_e32 vcc, 31, v62
	v_mov_b32_dpp v28, v3 row_bcast:15 row_mask:0xf bank_mask:0xf
	v_and_b32_e32 v28, v37, v28
	v_add_u32_e32 v3, v3, v28
	v_and_b32_e32 v37, 64, v62
	s_nop 0
	v_mov_b32_dpp v28, v3 row_bcast:31 row_mask:0xf bank_mask:0xf
	v_cndmask_b32_e32 v28, 0, v28, vcc
	v_add_u32_e32 v3, v3, v28
	v_add_u32_e32 v28, -1, v62
	v_cmp_lt_i32_e32 vcc, v28, v37
	v_cndmask_b32_e32 v28, v28, v62, vcc
	v_lshlrev_b32_e32 v28, 2, v28
	ds_bpermute_b32 v3, v28, v3
	s_waitcnt lgkmcnt(0)
	v_add_u32_e32 v3, v3, v4
	v_cndmask_b32_e64 v2, v3, v2, s[22:23]
	v_add_u32_e32 v3, v2, v5
	ds_write2_b32 v55, v2, v3 offset1:1
	v_add_u32_e32 v2, v3, v6
	v_add_u32_e32 v3, v2, v7
	ds_write2_b32 v55, v2, v3 offset0:2 offset1:3
	v_add_u32_e32 v2, v3, v8
	v_add_u32_e32 v3, v2, v9
	ds_write2_b32 v55, v2, v3 offset0:4 offset1:5
	;; [unrolled: 3-line block ×7, first 2 shown]
.LBB3_147:                              ;   in Loop: Header=BB3_20 Depth=1
	s_or_b64 exec, exec, s[4:5]
	v_mov_b32_e32 v2, 0
	s_waitcnt lgkmcnt(0)
	s_barrier
	s_and_saveexec_b64 s[4:5], s[20:21]
	s_cbranch_execz .LBB3_149
; %bb.148:                              ;   in Loop: Header=BB3_20 Depth=1
	ds_read_b32 v2, v56
.LBB3_149:                              ;   in Loop: Header=BB3_20 Depth=1
	s_or_b64 exec, exec, s[4:5]
	s_waitcnt lgkmcnt(0)
	v_add_u32_e32 v0, v2, v0
	v_add_u32_e32 v1, v0, v1
	s_barrier
	ds_write2_b32 v54, v0, v1 offset1:1
	s_waitcnt lgkmcnt(0)
	s_barrier
	ds_read_b32 v0, v52
	ds_read_b32 v1, v53 offset:4096
	s_waitcnt lgkmcnt(1)
	flat_store_dword v[32:33], v0
	s_waitcnt vmcnt(0) lgkmcnt(0)
	flat_store_dword v[34:35], v1
	s_waitcnt vmcnt(0) lgkmcnt(0)
	s_barrier
	ds_read_b32 v0, v29 offset:16896
	s_mov_b64 s[52:53], 0
	v_mov_b32_e32 v3, v59
	v_mov_b32_e32 v4, v26
	s_branch .LBB3_151
.LBB3_150:                              ;   in Loop: Header=BB3_151 Depth=2
	s_or_b64 exec, exec, s[4:5]
	v_add_u32_e32 v4, s72, v4
	v_cmp_lt_u32_e32 vcc, s90, v4
	s_or_b64 s[52:53], vcc, s[52:53]
	v_add_u32_e32 v3, s82, v3
	s_andn2_b64 exec, exec, s[52:53]
	s_cbranch_execz .LBB3_155
.LBB3_151:                              ;   Parent Loop BB3_20 Depth=1
                                        ; =>  This Inner Loop Header: Depth=2
	v_cmp_ne_u32_e32 vcc, 0, v4
	v_mov_b32_e32 v2, 0
	s_and_saveexec_b64 s[4:5], vcc
	s_cbranch_execz .LBB3_153
; %bb.152:                              ;   in Loop: Header=BB3_151 Depth=2
	ds_read_b32 v2, v3
.LBB3_153:                              ;   in Loop: Header=BB3_151 Depth=2
	s_or_b64 exec, exec, s[4:5]
	ds_read_b32 v5, v3 offset:4
	s_waitcnt lgkmcnt(1)
	v_cmp_gt_i32_e32 vcc, v40, v2
	s_waitcnt lgkmcnt(0)
	v_cmp_ge_i32_e64 s[4:5], v5, v40
	s_and_b64 s[54:55], vcc, s[4:5]
	s_and_saveexec_b64 s[4:5], s[54:55]
	s_cbranch_execz .LBB3_150
; %bb.154:                              ;   in Loop: Header=BB3_151 Depth=2
	v_sub_u32_e32 v1, v40, v2
	v_sub_u32_e32 v2, v5, v2
	v_lshl_or_b32 v0, v4, s58, v0
	ds_write_b96 v29, v[0:2] offset:16896
	s_branch .LBB3_150
.LBB3_155:                              ;   in Loop: Header=BB3_20 Depth=1
	s_or_b64 exec, exec, s[52:53]
	s_cmp_eq_u32 s91, 2
	s_waitcnt lgkmcnt(0)
	s_barrier
	s_cbranch_scc0 .LBB3_640
; %bb.156:                              ;   in Loop: Header=BB3_20 Depth=1
	ds_read_b64 v[40:41], v29 offset:16896
	s_and_saveexec_b64 s[4:5], s[12:13]
	s_cbranch_execz .LBB3_158
; %bb.157:                              ;   in Loop: Header=BB3_20 Depth=1
	s_waitcnt lgkmcnt(0)
	global_store_dword v29, v41, s[28:29]
	global_store_dword v29, v40, s[28:29] offset:12
.LBB3_158:                              ;   in Loop: Header=BB3_20 Depth=1
	s_or_b64 exec, exec, s[4:5]
	v_mov_b32_e32 v42, v24
	s_and_saveexec_b64 s[4:5], s[8:9]
	s_cbranch_execz .LBB3_514
; %bb.159:                              ;   in Loop: Header=BB3_20 Depth=1
	s_mov_b64 s[52:53], 0
	v_pk_mov_b32 v[44:45], v[22:23], v[22:23] op_sel:[0,1]
	v_pk_mov_b32 v[42:43], v[20:21], v[20:21] op_sel:[0,1]
	s_branch .LBB3_161
.LBB3_160:                              ;   in Loop: Header=BB3_161 Depth=2
	s_or_b64 exec, exec, s[54:55]
	v_add_u32_e32 v42, s63, v42
	v_ashrrev_i32_e32 v43, 31, v42
	v_mov_b32_e32 v0, s69
	v_add_co_u32_e32 v44, vcc, s70, v42
	v_addc_co_u32_e32 v45, vcc, v0, v43, vcc
	v_cmp_le_u64_e32 vcc, s[34:35], v[44:45]
	s_or_b64 s[52:53], vcc, s[52:53]
	s_andn2_b64 exec, exec, s[52:53]
	s_cbranch_execz .LBB3_513
.LBB3_161:                              ;   Parent Loop BB3_20 Depth=1
                                        ; =>  This Inner Loop Header: Depth=2
	v_lshlrev_b64 v[0:1], 4, v[42:43]
	s_waitcnt vmcnt(0)
	v_mov_b32_e32 v2, s68
	v_add_co_u32_e32 v4, vcc, s24, v0
	v_addc_co_u32_e32 v5, vcc, v2, v1, vcc
	global_load_dwordx4 v[0:3], v[4:5], off
	v_mov_b32_e32 v6, s39
	v_add_co_u32_e32 v8, vcc, s38, v4
	v_addc_co_u32_e32 v9, vcc, v5, v6, vcc
	global_load_dwordx4 v[4:7], v[8:9], off
	v_lshl_add_u32 v10, v42, 2, s36
	s_mov_b64 s[56:57], 0
                                        ; implicit-def: $vgpr46
	s_waitcnt vmcnt(1)
	v_cmp_gt_i32_e32 vcc, 0, v0
	v_cndmask_b32_e64 v11, v61, 0, vcc
	v_xor_b32_e32 v11, v11, v0
	s_waitcnt lgkmcnt(0)
	v_cmp_ge_u32_e32 vcc, v11, v40
                                        ; implicit-def: $vgpr0
	s_and_saveexec_b64 s[54:55], vcc
	s_xor_b64 s[54:55], exec, s[54:55]
	s_cbranch_execz .LBB3_168
; %bb.162:                              ;   in Loop: Header=BB3_161 Depth=2
	v_cmp_eq_u32_e32 vcc, v11, v40
	s_mov_b64 s[58:59], 0
                                        ; implicit-def: $vgpr0
                                        ; implicit-def: $vgpr46
	s_and_saveexec_b64 s[56:57], vcc
	s_cbranch_execz .LBB3_180
; %bb.163:                              ;   in Loop: Header=BB3_161 Depth=2
	s_mov_b64 s[60:61], exec
	v_mbcnt_lo_u32_b32 v0, s60, 0
	v_mbcnt_hi_u32_b32 v0, s61, v0
	v_cmp_eq_u32_e32 vcc, 0, v0
                                        ; implicit-def: $vgpr11
	s_and_saveexec_b64 s[58:59], vcc
	s_cbranch_execz .LBB3_165
; %bb.164:                              ;   in Loop: Header=BB3_161 Depth=2
	s_bcnt1_i32_b64 s44, s[60:61]
	v_mov_b32_e32 v11, s44
	global_atomic_add v11, v29, v11, s[28:29] offset:512 glc
.LBB3_165:                              ;   in Loop: Header=BB3_161 Depth=2
	s_or_b64 exec, exec, s[58:59]
	s_waitcnt vmcnt(0)
	v_readfirstlane_b32 s44, v11
	v_add_u32_e32 v11, s44, v0
	v_cmp_lt_i32_e32 vcc, v11, v41
	s_mov_b64 s[60:61], 0
                                        ; implicit-def: $vgpr0
                                        ; implicit-def: $vgpr46
	s_and_saveexec_b64 s[58:59], vcc
	s_xor_b64 s[58:59], exec, s[58:59]
	s_cbranch_execz .LBB3_179
; %bb.166:                              ;   in Loop: Header=BB3_161 Depth=2
	s_andn2_b64 vcc, exec, s[6:7]
	v_xad_u32 v46, v11, -1, s71
	s_cbranch_vccnz .LBB3_176
; %bb.167:                              ;   in Loop: Header=BB3_161 Depth=2
	v_ashrrev_i32_e32 v11, 31, v10
	v_lshlrev_b64 v[48:49], 2, v[10:11]
	v_mov_b32_e32 v0, s27
	v_add_co_u32_e32 v48, vcc, s26, v48
	v_addc_co_u32_e32 v49, vcc, v0, v49, vcc
	global_load_dword v0, v[48:49], off
	s_andn2_b64 vcc, exec, s[60:61]
	s_cbranch_vccz .LBB3_177
	s_branch .LBB3_178
.LBB3_168:                              ;   in Loop: Header=BB3_161 Depth=2
	s_andn2_saveexec_b64 s[54:55], s[54:55]
	s_cbranch_execz .LBB3_181
.LBB3_169:                              ;   in Loop: Header=BB3_161 Depth=2
	s_mov_b64 s[60:61], exec
	s_waitcnt vmcnt(0)
	v_mbcnt_lo_u32_b32 v0, s60, 0
	v_mbcnt_hi_u32_b32 v0, s61, v0
	v_cmp_eq_u32_e32 vcc, 0, v0
                                        ; implicit-def: $vgpr11
	s_and_saveexec_b64 s[58:59], vcc
	s_cbranch_execz .LBB3_171
; %bb.170:                              ;   in Loop: Header=BB3_161 Depth=2
	s_bcnt1_i32_b64 s44, s[60:61]
	v_mov_b32_e32 v11, s44
	global_atomic_add v11, v29, v11, s[28:29] offset:384 glc
.LBB3_171:                              ;   in Loop: Header=BB3_161 Depth=2
	s_or_b64 exec, exec, s[58:59]
	s_waitcnt vmcnt(0)
	v_readfirstlane_b32 s44, v11
	s_andn2_b64 vcc, exec, s[6:7]
	v_add_u32_e32 v46, s44, v0
	s_cbranch_vccnz .LBB3_173
; %bb.172:                              ;   in Loop: Header=BB3_161 Depth=2
	v_ashrrev_i32_e32 v11, 31, v10
	v_lshlrev_b64 v[48:49], 2, v[10:11]
	v_mov_b32_e32 v0, s27
	v_add_co_u32_e32 v48, vcc, s26, v48
	v_addc_co_u32_e32 v49, vcc, v0, v49, vcc
	global_load_dword v0, v[48:49], off
	s_cbranch_execz .LBB3_174
	s_branch .LBB3_175
.LBB3_173:                              ;   in Loop: Header=BB3_161 Depth=2
                                        ; implicit-def: $vgpr0
.LBB3_174:                              ;   in Loop: Header=BB3_161 Depth=2
	s_waitcnt vmcnt(0)
	v_add_u32_e32 v0, s25, v10
.LBB3_175:                              ;   in Loop: Header=BB3_161 Depth=2
	s_or_b64 s[56:57], s[56:57], exec
	s_or_b64 exec, exec, s[54:55]
	s_and_saveexec_b64 s[54:55], s[56:57]
	s_cbranch_execnz .LBB3_182
	s_branch .LBB3_183
.LBB3_176:                              ;   in Loop: Header=BB3_161 Depth=2
                                        ; implicit-def: $vgpr0
.LBB3_177:                              ;   in Loop: Header=BB3_161 Depth=2
	s_waitcnt vmcnt(0)
	v_add_u32_e32 v0, s25, v10
.LBB3_178:                              ;   in Loop: Header=BB3_161 Depth=2
	s_mov_b64 s[60:61], exec
.LBB3_179:                              ;   in Loop: Header=BB3_161 Depth=2
	s_or_b64 exec, exec, s[58:59]
	s_and_b64 s[58:59], s[60:61], exec
.LBB3_180:                              ;   in Loop: Header=BB3_161 Depth=2
	s_or_b64 exec, exec, s[56:57]
	s_and_b64 s[56:57], s[58:59], exec
	s_andn2_saveexec_b64 s[54:55], s[54:55]
	s_cbranch_execnz .LBB3_169
.LBB3_181:                              ;   in Loop: Header=BB3_161 Depth=2
	s_or_b64 exec, exec, s[54:55]
	s_and_saveexec_b64 s[54:55], s[56:57]
	s_cbranch_execz .LBB3_183
.LBB3_182:                              ;   in Loop: Header=BB3_161 Depth=2
	v_ashrrev_i32_e32 v47, 31, v46
	v_lshlrev_b64 v[46:47], 2, v[46:47]
	v_mov_b32_e32 v11, s62
	v_add_co_u32_e32 v46, vcc, s33, v46
	v_addc_co_u32_e32 v47, vcc, v11, v47, vcc
	s_waitcnt vmcnt(0)
	global_store_dword v[46:47], v0, off
.LBB3_183:                              ;   in Loop: Header=BB3_161 Depth=2
	s_or_b64 exec, exec, s[54:55]
	v_cmp_gt_i32_e32 vcc, 0, v1
	s_waitcnt vmcnt(0)
	v_cndmask_b32_e64 v0, v61, 0, vcc
	v_xor_b32_e32 v1, v0, v1
	v_add_u32_e32 v28, 1, v10
	v_cmp_ge_u32_e32 vcc, v1, v40
	s_mov_b64 s[56:57], 0
                                        ; implicit-def: $vgpr11
                                        ; implicit-def: $vgpr0
	s_and_saveexec_b64 s[54:55], vcc
	s_xor_b64 s[54:55], exec, s[54:55]
	s_cbranch_execz .LBB3_190
; %bb.184:                              ;   in Loop: Header=BB3_161 Depth=2
	v_cmp_eq_u32_e32 vcc, v1, v40
	s_mov_b64 s[58:59], 0
                                        ; implicit-def: $vgpr11
                                        ; implicit-def: $vgpr0
	s_and_saveexec_b64 s[56:57], vcc
	s_cbranch_execz .LBB3_202
; %bb.185:                              ;   in Loop: Header=BB3_161 Depth=2
	s_mov_b64 s[60:61], exec
	v_mbcnt_lo_u32_b32 v0, s60, 0
	v_mbcnt_hi_u32_b32 v0, s61, v0
	v_cmp_eq_u32_e32 vcc, 0, v0
                                        ; implicit-def: $vgpr1
	s_and_saveexec_b64 s[58:59], vcc
	s_cbranch_execz .LBB3_187
; %bb.186:                              ;   in Loop: Header=BB3_161 Depth=2
	s_bcnt1_i32_b64 s44, s[60:61]
	v_mov_b32_e32 v1, s44
	global_atomic_add v1, v29, v1, s[28:29] offset:512 glc
.LBB3_187:                              ;   in Loop: Header=BB3_161 Depth=2
	s_or_b64 exec, exec, s[58:59]
	s_waitcnt vmcnt(0)
	v_readfirstlane_b32 s44, v1
	v_add_u32_e32 v1, s44, v0
	v_cmp_lt_i32_e32 vcc, v1, v41
	s_mov_b64 s[60:61], 0
                                        ; implicit-def: $vgpr11
                                        ; implicit-def: $vgpr0
	s_and_saveexec_b64 s[58:59], vcc
	s_cbranch_execz .LBB3_201
; %bb.188:                              ;   in Loop: Header=BB3_161 Depth=2
	s_andn2_b64 vcc, exec, s[6:7]
	v_xad_u32 v0, v1, -1, s71
	s_cbranch_vccnz .LBB3_198
; %bb.189:                              ;   in Loop: Header=BB3_161 Depth=2
	v_ashrrev_i32_e32 v11, 31, v10
	v_lshlrev_b64 v[46:47], 2, v[10:11]
	v_mov_b32_e32 v1, s37
	v_add_co_u32_e32 v46, vcc, s31, v46
	v_addc_co_u32_e32 v47, vcc, v1, v47, vcc
	global_load_dword v11, v[46:47], off
	s_andn2_b64 vcc, exec, s[60:61]
	s_cbranch_vccz .LBB3_199
	s_branch .LBB3_200
.LBB3_190:                              ;   in Loop: Header=BB3_161 Depth=2
	s_andn2_saveexec_b64 s[54:55], s[54:55]
	s_cbranch_execz .LBB3_203
.LBB3_191:                              ;   in Loop: Header=BB3_161 Depth=2
	s_mov_b64 s[60:61], exec
	v_mbcnt_lo_u32_b32 v0, s60, 0
	v_mbcnt_hi_u32_b32 v0, s61, v0
	v_cmp_eq_u32_e32 vcc, 0, v0
                                        ; implicit-def: $vgpr1
	s_and_saveexec_b64 s[58:59], vcc
	s_cbranch_execz .LBB3_193
; %bb.192:                              ;   in Loop: Header=BB3_161 Depth=2
	s_bcnt1_i32_b64 s44, s[60:61]
	v_mov_b32_e32 v1, s44
	global_atomic_add v1, v29, v1, s[28:29] offset:384 glc
.LBB3_193:                              ;   in Loop: Header=BB3_161 Depth=2
	s_or_b64 exec, exec, s[58:59]
	s_waitcnt vmcnt(0)
	v_readfirstlane_b32 s44, v1
	s_andn2_b64 vcc, exec, s[6:7]
	v_add_u32_e32 v0, s44, v0
	s_cbranch_vccnz .LBB3_195
; %bb.194:                              ;   in Loop: Header=BB3_161 Depth=2
	v_ashrrev_i32_e32 v11, 31, v10
	v_lshlrev_b64 v[46:47], 2, v[10:11]
	v_mov_b32_e32 v1, s37
	v_add_co_u32_e32 v46, vcc, s31, v46
	v_addc_co_u32_e32 v47, vcc, v1, v47, vcc
	global_load_dword v11, v[46:47], off
	s_cbranch_execz .LBB3_196
	s_branch .LBB3_197
.LBB3_195:                              ;   in Loop: Header=BB3_161 Depth=2
                                        ; implicit-def: $vgpr11
.LBB3_196:                              ;   in Loop: Header=BB3_161 Depth=2
	s_waitcnt vmcnt(0)
	v_add_u32_e32 v11, s25, v28
.LBB3_197:                              ;   in Loop: Header=BB3_161 Depth=2
	s_or_b64 s[56:57], s[56:57], exec
	s_or_b64 exec, exec, s[54:55]
	s_and_saveexec_b64 s[54:55], s[56:57]
	s_cbranch_execnz .LBB3_204
	s_branch .LBB3_205
.LBB3_198:                              ;   in Loop: Header=BB3_161 Depth=2
                                        ; implicit-def: $vgpr11
.LBB3_199:                              ;   in Loop: Header=BB3_161 Depth=2
	s_waitcnt vmcnt(0)
	v_add_u32_e32 v11, s25, v28
.LBB3_200:                              ;   in Loop: Header=BB3_161 Depth=2
	s_mov_b64 s[60:61], exec
.LBB3_201:                              ;   in Loop: Header=BB3_161 Depth=2
	s_or_b64 exec, exec, s[58:59]
	s_and_b64 s[58:59], s[60:61], exec
.LBB3_202:                              ;   in Loop: Header=BB3_161 Depth=2
	s_or_b64 exec, exec, s[56:57]
	s_and_b64 s[56:57], s[58:59], exec
                                        ; implicit-def: $vgpr28
	s_andn2_saveexec_b64 s[54:55], s[54:55]
	s_cbranch_execnz .LBB3_191
.LBB3_203:                              ;   in Loop: Header=BB3_161 Depth=2
	s_or_b64 exec, exec, s[54:55]
	s_and_saveexec_b64 s[54:55], s[56:57]
	s_cbranch_execz .LBB3_205
.LBB3_204:                              ;   in Loop: Header=BB3_161 Depth=2
	v_ashrrev_i32_e32 v1, 31, v0
	v_lshlrev_b64 v[0:1], 2, v[0:1]
	v_mov_b32_e32 v28, s62
	v_add_co_u32_e32 v0, vcc, s33, v0
	v_addc_co_u32_e32 v1, vcc, v28, v1, vcc
	s_waitcnt vmcnt(0)
	global_store_dword v[0:1], v11, off
.LBB3_205:                              ;   in Loop: Header=BB3_161 Depth=2
	s_or_b64 exec, exec, s[54:55]
	v_cmp_gt_i32_e32 vcc, 0, v2
	v_cndmask_b32_e64 v0, v61, 0, vcc
	s_waitcnt vmcnt(0)
	v_xor_b32_e32 v11, v0, v2
	v_add_u32_e32 v1, 2, v10
	v_cmp_ge_u32_e32 vcc, v11, v40
	s_mov_b64 s[56:57], 0
                                        ; implicit-def: $vgpr2
                                        ; implicit-def: $vgpr0
	s_and_saveexec_b64 s[54:55], vcc
	s_xor_b64 s[54:55], exec, s[54:55]
	s_cbranch_execz .LBB3_212
; %bb.206:                              ;   in Loop: Header=BB3_161 Depth=2
	v_cmp_eq_u32_e32 vcc, v11, v40
	s_mov_b64 s[58:59], 0
                                        ; implicit-def: $vgpr2
                                        ; implicit-def: $vgpr0
	s_and_saveexec_b64 s[56:57], vcc
	s_cbranch_execz .LBB3_224
; %bb.207:                              ;   in Loop: Header=BB3_161 Depth=2
	s_mov_b64 s[60:61], exec
	v_mbcnt_lo_u32_b32 v0, s60, 0
	v_mbcnt_hi_u32_b32 v0, s61, v0
	v_cmp_eq_u32_e32 vcc, 0, v0
                                        ; implicit-def: $vgpr2
	s_and_saveexec_b64 s[58:59], vcc
	s_cbranch_execz .LBB3_209
; %bb.208:                              ;   in Loop: Header=BB3_161 Depth=2
	s_bcnt1_i32_b64 s44, s[60:61]
	v_mov_b32_e32 v2, s44
	global_atomic_add v2, v29, v2, s[28:29] offset:512 glc
.LBB3_209:                              ;   in Loop: Header=BB3_161 Depth=2
	s_or_b64 exec, exec, s[58:59]
	s_waitcnt vmcnt(0)
	v_readfirstlane_b32 s44, v2
	v_add_u32_e32 v11, s44, v0
	v_cmp_lt_i32_e32 vcc, v11, v41
	s_mov_b64 s[60:61], 0
                                        ; implicit-def: $vgpr2
                                        ; implicit-def: $vgpr0
	s_and_saveexec_b64 s[58:59], vcc
	s_cbranch_execz .LBB3_223
; %bb.210:                              ;   in Loop: Header=BB3_161 Depth=2
	s_andn2_b64 vcc, exec, s[6:7]
	v_xad_u32 v0, v11, -1, s71
	s_cbranch_vccnz .LBB3_220
; %bb.211:                              ;   in Loop: Header=BB3_161 Depth=2
	v_ashrrev_i32_e32 v11, 31, v10
	v_lshlrev_b64 v[46:47], 2, v[10:11]
	v_mov_b32_e32 v2, s65
	v_add_co_u32_e32 v46, vcc, s64, v46
	v_addc_co_u32_e32 v47, vcc, v2, v47, vcc
	global_load_dword v2, v[46:47], off
	s_andn2_b64 vcc, exec, s[60:61]
	s_cbranch_vccz .LBB3_221
	s_branch .LBB3_222
.LBB3_212:                              ;   in Loop: Header=BB3_161 Depth=2
	s_andn2_saveexec_b64 s[54:55], s[54:55]
	s_cbranch_execz .LBB3_225
.LBB3_213:                              ;   in Loop: Header=BB3_161 Depth=2
	s_mov_b64 s[60:61], exec
	v_mbcnt_lo_u32_b32 v0, s60, 0
	v_mbcnt_hi_u32_b32 v0, s61, v0
	v_cmp_eq_u32_e32 vcc, 0, v0
                                        ; implicit-def: $vgpr2
	s_and_saveexec_b64 s[58:59], vcc
	s_cbranch_execz .LBB3_215
; %bb.214:                              ;   in Loop: Header=BB3_161 Depth=2
	s_bcnt1_i32_b64 s44, s[60:61]
	s_waitcnt vmcnt(0)
	v_mov_b32_e32 v2, s44
	global_atomic_add v2, v29, v2, s[28:29] offset:384 glc
.LBB3_215:                              ;   in Loop: Header=BB3_161 Depth=2
	s_or_b64 exec, exec, s[58:59]
	s_waitcnt vmcnt(0)
	v_readfirstlane_b32 s44, v2
	s_andn2_b64 vcc, exec, s[6:7]
	v_add_u32_e32 v0, s44, v0
	s_cbranch_vccnz .LBB3_217
; %bb.216:                              ;   in Loop: Header=BB3_161 Depth=2
	v_ashrrev_i32_e32 v11, 31, v10
	v_lshlrev_b64 v[46:47], 2, v[10:11]
	v_mov_b32_e32 v2, s65
	v_add_co_u32_e32 v46, vcc, s64, v46
	v_addc_co_u32_e32 v47, vcc, v2, v47, vcc
	global_load_dword v2, v[46:47], off
	s_cbranch_execz .LBB3_218
	s_branch .LBB3_219
.LBB3_217:                              ;   in Loop: Header=BB3_161 Depth=2
                                        ; implicit-def: $vgpr2
.LBB3_218:                              ;   in Loop: Header=BB3_161 Depth=2
	s_waitcnt vmcnt(0)
	v_add_u32_e32 v2, s25, v1
.LBB3_219:                              ;   in Loop: Header=BB3_161 Depth=2
	s_or_b64 s[56:57], s[56:57], exec
	s_or_b64 exec, exec, s[54:55]
	s_and_saveexec_b64 s[54:55], s[56:57]
	s_cbranch_execnz .LBB3_226
	s_branch .LBB3_227
.LBB3_220:                              ;   in Loop: Header=BB3_161 Depth=2
                                        ; implicit-def: $vgpr2
.LBB3_221:                              ;   in Loop: Header=BB3_161 Depth=2
	s_waitcnt vmcnt(0)
	v_add_u32_e32 v2, s25, v1
.LBB3_222:                              ;   in Loop: Header=BB3_161 Depth=2
	s_mov_b64 s[60:61], exec
.LBB3_223:                              ;   in Loop: Header=BB3_161 Depth=2
	s_or_b64 exec, exec, s[58:59]
	s_and_b64 s[58:59], s[60:61], exec
.LBB3_224:                              ;   in Loop: Header=BB3_161 Depth=2
	s_or_b64 exec, exec, s[56:57]
	s_and_b64 s[56:57], s[58:59], exec
                                        ; implicit-def: $vgpr1
	s_andn2_saveexec_b64 s[54:55], s[54:55]
	s_cbranch_execnz .LBB3_213
.LBB3_225:                              ;   in Loop: Header=BB3_161 Depth=2
	s_or_b64 exec, exec, s[54:55]
	s_and_saveexec_b64 s[54:55], s[56:57]
	s_cbranch_execz .LBB3_227
.LBB3_226:                              ;   in Loop: Header=BB3_161 Depth=2
	v_ashrrev_i32_e32 v1, 31, v0
	v_lshlrev_b64 v[0:1], 2, v[0:1]
	v_mov_b32_e32 v11, s62
	v_add_co_u32_e32 v0, vcc, s33, v0
	v_addc_co_u32_e32 v1, vcc, v11, v1, vcc
	s_waitcnt vmcnt(0)
	global_store_dword v[0:1], v2, off
.LBB3_227:                              ;   in Loop: Header=BB3_161 Depth=2
	s_or_b64 exec, exec, s[54:55]
	v_cmp_gt_i32_e32 vcc, 0, v3
	v_cndmask_b32_e64 v0, v61, 0, vcc
	v_xor_b32_e32 v3, v0, v3
	v_add_u32_e32 v1, 3, v10
	v_cmp_ge_u32_e32 vcc, v3, v40
	s_mov_b64 s[56:57], 0
                                        ; implicit-def: $vgpr2
                                        ; implicit-def: $vgpr0
	s_and_saveexec_b64 s[54:55], vcc
	s_xor_b64 s[54:55], exec, s[54:55]
	s_cbranch_execz .LBB3_234
; %bb.228:                              ;   in Loop: Header=BB3_161 Depth=2
	v_cmp_eq_u32_e32 vcc, v3, v40
	s_mov_b64 s[58:59], 0
                                        ; implicit-def: $vgpr2
                                        ; implicit-def: $vgpr0
	s_and_saveexec_b64 s[56:57], vcc
	s_cbranch_execz .LBB3_246
; %bb.229:                              ;   in Loop: Header=BB3_161 Depth=2
	s_mov_b64 s[60:61], exec
	v_mbcnt_lo_u32_b32 v0, s60, 0
	v_mbcnt_hi_u32_b32 v0, s61, v0
	v_cmp_eq_u32_e32 vcc, 0, v0
                                        ; implicit-def: $vgpr2
	s_and_saveexec_b64 s[58:59], vcc
	s_cbranch_execz .LBB3_231
; %bb.230:                              ;   in Loop: Header=BB3_161 Depth=2
	s_bcnt1_i32_b64 s44, s[60:61]
	s_waitcnt vmcnt(0)
	v_mov_b32_e32 v2, s44
	global_atomic_add v2, v29, v2, s[28:29] offset:512 glc
.LBB3_231:                              ;   in Loop: Header=BB3_161 Depth=2
	s_or_b64 exec, exec, s[58:59]
	s_waitcnt vmcnt(0)
	v_readfirstlane_b32 s44, v2
	v_add_u32_e32 v3, s44, v0
	v_cmp_lt_i32_e32 vcc, v3, v41
	s_mov_b64 s[60:61], 0
                                        ; implicit-def: $vgpr2
                                        ; implicit-def: $vgpr0
	s_and_saveexec_b64 s[58:59], vcc
	s_cbranch_execz .LBB3_245
; %bb.232:                              ;   in Loop: Header=BB3_161 Depth=2
	s_andn2_b64 vcc, exec, s[6:7]
	v_xad_u32 v0, v3, -1, s71
	s_cbranch_vccnz .LBB3_242
; %bb.233:                              ;   in Loop: Header=BB3_161 Depth=2
	v_ashrrev_i32_e32 v11, 31, v10
	v_lshlrev_b64 v[2:3], 2, v[10:11]
	v_mov_b32_e32 v10, s67
	v_add_co_u32_e32 v2, vcc, s66, v2
	v_addc_co_u32_e32 v3, vcc, v10, v3, vcc
	global_load_dword v2, v[2:3], off
	s_andn2_b64 vcc, exec, s[60:61]
	s_cbranch_vccz .LBB3_243
	s_branch .LBB3_244
.LBB3_234:                              ;   in Loop: Header=BB3_161 Depth=2
	s_andn2_saveexec_b64 s[54:55], s[54:55]
	s_cbranch_execz .LBB3_247
.LBB3_235:                              ;   in Loop: Header=BB3_161 Depth=2
	s_mov_b64 s[60:61], exec
	v_mbcnt_lo_u32_b32 v0, s60, 0
	v_mbcnt_hi_u32_b32 v0, s61, v0
	v_cmp_eq_u32_e32 vcc, 0, v0
                                        ; implicit-def: $vgpr2
	s_and_saveexec_b64 s[58:59], vcc
	s_cbranch_execz .LBB3_237
; %bb.236:                              ;   in Loop: Header=BB3_161 Depth=2
	s_bcnt1_i32_b64 s44, s[60:61]
	s_waitcnt vmcnt(0)
	v_mov_b32_e32 v2, s44
	global_atomic_add v2, v29, v2, s[28:29] offset:384 glc
.LBB3_237:                              ;   in Loop: Header=BB3_161 Depth=2
	s_or_b64 exec, exec, s[58:59]
	s_waitcnt vmcnt(0)
	v_readfirstlane_b32 s44, v2
	s_andn2_b64 vcc, exec, s[6:7]
	v_add_u32_e32 v0, s44, v0
	s_cbranch_vccnz .LBB3_239
; %bb.238:                              ;   in Loop: Header=BB3_161 Depth=2
	v_ashrrev_i32_e32 v11, 31, v10
	v_lshlrev_b64 v[2:3], 2, v[10:11]
	v_mov_b32_e32 v10, s67
	v_add_co_u32_e32 v2, vcc, s66, v2
	v_addc_co_u32_e32 v3, vcc, v10, v3, vcc
	global_load_dword v2, v[2:3], off
	s_cbranch_execz .LBB3_240
	s_branch .LBB3_241
.LBB3_239:                              ;   in Loop: Header=BB3_161 Depth=2
                                        ; implicit-def: $vgpr2
.LBB3_240:                              ;   in Loop: Header=BB3_161 Depth=2
	s_waitcnt vmcnt(0)
	v_add_u32_e32 v2, s25, v1
.LBB3_241:                              ;   in Loop: Header=BB3_161 Depth=2
	s_or_b64 s[56:57], s[56:57], exec
	s_or_b64 exec, exec, s[54:55]
	s_and_saveexec_b64 s[54:55], s[56:57]
	s_cbranch_execnz .LBB3_248
	s_branch .LBB3_249
.LBB3_242:                              ;   in Loop: Header=BB3_161 Depth=2
                                        ; implicit-def: $vgpr2
.LBB3_243:                              ;   in Loop: Header=BB3_161 Depth=2
	s_waitcnt vmcnt(0)
	v_add_u32_e32 v2, s25, v1
.LBB3_244:                              ;   in Loop: Header=BB3_161 Depth=2
	s_mov_b64 s[60:61], exec
.LBB3_245:                              ;   in Loop: Header=BB3_161 Depth=2
	s_or_b64 exec, exec, s[58:59]
	s_and_b64 s[58:59], s[60:61], exec
.LBB3_246:                              ;   in Loop: Header=BB3_161 Depth=2
	s_or_b64 exec, exec, s[56:57]
	s_and_b64 s[56:57], s[58:59], exec
                                        ; implicit-def: $vgpr1
                                        ; implicit-def: $vgpr10
	s_andn2_saveexec_b64 s[54:55], s[54:55]
	s_cbranch_execnz .LBB3_235
.LBB3_247:                              ;   in Loop: Header=BB3_161 Depth=2
	s_or_b64 exec, exec, s[54:55]
	s_and_saveexec_b64 s[54:55], s[56:57]
	s_cbranch_execz .LBB3_249
.LBB3_248:                              ;   in Loop: Header=BB3_161 Depth=2
	v_ashrrev_i32_e32 v1, 31, v0
	v_lshlrev_b64 v[0:1], 2, v[0:1]
	v_mov_b32_e32 v3, s62
	v_add_co_u32_e32 v0, vcc, s33, v0
	v_addc_co_u32_e32 v1, vcc, v3, v1, vcc
	s_waitcnt vmcnt(0)
	global_store_dword v[0:1], v2, off
.LBB3_249:                              ;   in Loop: Header=BB3_161 Depth=2
	s_or_b64 exec, exec, s[54:55]
	v_mov_b32_e32 v1, s39
	v_add_co_u32_e32 v0, vcc, s38, v8
	v_addc_co_u32_e32 v1, vcc, v9, v1, vcc
	s_waitcnt vmcnt(0)
	v_lshlrev_b64 v[2:3], 4, v[44:45]
	v_mov_b32_e32 v8, s68
	v_add_co_u32_e32 v2, vcc, s24, v2
	v_addc_co_u32_e32 v3, vcc, v8, v3, vcc
	global_load_dwordx4 v[8:11], v[0:1], off
	s_nop 0
	global_load_dwordx4 v[0:3], v[2:3], off
	v_add_co_u32_e32 v28, vcc, s30, v42
	v_cmp_gt_i32_e32 vcc, 0, v4
	v_cndmask_b32_e64 v37, v61, 0, vcc
	v_xor_b32_e32 v37, v37, v4
	v_lshl_add_u32 v46, v28, 2, s36
	v_cmp_ge_u32_e32 vcc, v37, v40
	s_mov_b64 s[56:57], 0
                                        ; implicit-def: $vgpr4
                                        ; implicit-def: $vgpr48
	s_and_saveexec_b64 s[54:55], vcc
	s_xor_b64 s[54:55], exec, s[54:55]
	s_cbranch_execz .LBB3_256
; %bb.250:                              ;   in Loop: Header=BB3_161 Depth=2
	v_cmp_eq_u32_e32 vcc, v37, v40
	s_mov_b64 s[58:59], 0
                                        ; implicit-def: $vgpr4
                                        ; implicit-def: $vgpr48
	s_and_saveexec_b64 s[56:57], vcc
	s_cbranch_execz .LBB3_268
; %bb.251:                              ;   in Loop: Header=BB3_161 Depth=2
	s_mov_b64 s[60:61], exec
	v_mbcnt_lo_u32_b32 v4, s60, 0
	v_mbcnt_hi_u32_b32 v4, s61, v4
	v_cmp_eq_u32_e32 vcc, 0, v4
                                        ; implicit-def: $vgpr37
	s_and_saveexec_b64 s[58:59], vcc
	s_cbranch_execz .LBB3_253
; %bb.252:                              ;   in Loop: Header=BB3_161 Depth=2
	s_bcnt1_i32_b64 s44, s[60:61]
	v_mov_b32_e32 v37, s44
	global_atomic_add v37, v29, v37, s[28:29] offset:512 glc
.LBB3_253:                              ;   in Loop: Header=BB3_161 Depth=2
	s_or_b64 exec, exec, s[58:59]
	s_waitcnt vmcnt(0)
	v_readfirstlane_b32 s44, v37
	v_add_u32_e32 v37, s44, v4
	v_cmp_lt_i32_e32 vcc, v37, v41
	s_mov_b64 s[60:61], 0
                                        ; implicit-def: $vgpr4
                                        ; implicit-def: $vgpr48
	s_and_saveexec_b64 s[58:59], vcc
	s_xor_b64 s[58:59], exec, s[58:59]
	s_cbranch_execz .LBB3_267
; %bb.254:                              ;   in Loop: Header=BB3_161 Depth=2
	s_andn2_b64 vcc, exec, s[6:7]
	v_xad_u32 v48, v37, -1, s71
	s_cbranch_vccnz .LBB3_264
; %bb.255:                              ;   in Loop: Header=BB3_161 Depth=2
	v_ashrrev_i32_e32 v47, 31, v46
	v_lshlrev_b64 v[64:65], 2, v[46:47]
	v_mov_b32_e32 v4, s27
	v_add_co_u32_e32 v64, vcc, s26, v64
	v_addc_co_u32_e32 v65, vcc, v4, v65, vcc
	global_load_dword v4, v[64:65], off
	s_andn2_b64 vcc, exec, s[60:61]
	s_cbranch_vccz .LBB3_265
	s_branch .LBB3_266
.LBB3_256:                              ;   in Loop: Header=BB3_161 Depth=2
	s_andn2_saveexec_b64 s[54:55], s[54:55]
	s_cbranch_execz .LBB3_269
.LBB3_257:                              ;   in Loop: Header=BB3_161 Depth=2
	s_mov_b64 s[60:61], exec
	s_waitcnt vmcnt(0)
	v_mbcnt_lo_u32_b32 v4, s60, 0
	v_mbcnt_hi_u32_b32 v4, s61, v4
	v_cmp_eq_u32_e32 vcc, 0, v4
                                        ; implicit-def: $vgpr37
	s_and_saveexec_b64 s[58:59], vcc
	s_cbranch_execz .LBB3_259
; %bb.258:                              ;   in Loop: Header=BB3_161 Depth=2
	s_bcnt1_i32_b64 s44, s[60:61]
	v_mov_b32_e32 v37, s44
	global_atomic_add v37, v29, v37, s[28:29] offset:384 glc
.LBB3_259:                              ;   in Loop: Header=BB3_161 Depth=2
	s_or_b64 exec, exec, s[58:59]
	s_waitcnt vmcnt(0)
	v_readfirstlane_b32 s44, v37
	s_andn2_b64 vcc, exec, s[6:7]
	v_add_u32_e32 v48, s44, v4
	s_cbranch_vccnz .LBB3_261
; %bb.260:                              ;   in Loop: Header=BB3_161 Depth=2
	v_ashrrev_i32_e32 v47, 31, v46
	v_lshlrev_b64 v[64:65], 2, v[46:47]
	v_mov_b32_e32 v4, s27
	v_add_co_u32_e32 v64, vcc, s26, v64
	v_addc_co_u32_e32 v65, vcc, v4, v65, vcc
	global_load_dword v4, v[64:65], off
	s_cbranch_execz .LBB3_262
	s_branch .LBB3_263
.LBB3_261:                              ;   in Loop: Header=BB3_161 Depth=2
                                        ; implicit-def: $vgpr4
.LBB3_262:                              ;   in Loop: Header=BB3_161 Depth=2
	s_waitcnt vmcnt(0)
	v_add_u32_e32 v4, s25, v46
.LBB3_263:                              ;   in Loop: Header=BB3_161 Depth=2
	s_or_b64 s[56:57], s[56:57], exec
	s_or_b64 exec, exec, s[54:55]
	s_and_saveexec_b64 s[54:55], s[56:57]
	s_cbranch_execnz .LBB3_270
	s_branch .LBB3_271
.LBB3_264:                              ;   in Loop: Header=BB3_161 Depth=2
                                        ; implicit-def: $vgpr4
.LBB3_265:                              ;   in Loop: Header=BB3_161 Depth=2
	s_waitcnt vmcnt(0)
	v_add_u32_e32 v4, s25, v46
.LBB3_266:                              ;   in Loop: Header=BB3_161 Depth=2
	s_mov_b64 s[60:61], exec
.LBB3_267:                              ;   in Loop: Header=BB3_161 Depth=2
	s_or_b64 exec, exec, s[58:59]
	s_and_b64 s[58:59], s[60:61], exec
.LBB3_268:                              ;   in Loop: Header=BB3_161 Depth=2
	s_or_b64 exec, exec, s[56:57]
	s_and_b64 s[56:57], s[58:59], exec
	s_andn2_saveexec_b64 s[54:55], s[54:55]
	s_cbranch_execnz .LBB3_257
.LBB3_269:                              ;   in Loop: Header=BB3_161 Depth=2
	s_or_b64 exec, exec, s[54:55]
	s_and_saveexec_b64 s[54:55], s[56:57]
	s_cbranch_execz .LBB3_271
.LBB3_270:                              ;   in Loop: Header=BB3_161 Depth=2
	v_ashrrev_i32_e32 v49, 31, v48
	v_lshlrev_b64 v[48:49], 2, v[48:49]
	v_mov_b32_e32 v37, s62
	v_add_co_u32_e32 v48, vcc, s33, v48
	v_addc_co_u32_e32 v49, vcc, v37, v49, vcc
	s_waitcnt vmcnt(0)
	global_store_dword v[48:49], v4, off
.LBB3_271:                              ;   in Loop: Header=BB3_161 Depth=2
	s_or_b64 exec, exec, s[54:55]
	v_cmp_gt_i32_e32 vcc, 0, v5
	s_waitcnt vmcnt(0)
	v_cndmask_b32_e64 v4, v61, 0, vcc
	v_xor_b32_e32 v5, v4, v5
	v_add_u32_e32 v37, 1, v46
	v_cmp_ge_u32_e32 vcc, v5, v40
	s_mov_b64 s[56:57], 0
                                        ; implicit-def: $vgpr43
                                        ; implicit-def: $vgpr4
	s_and_saveexec_b64 s[54:55], vcc
	s_xor_b64 s[54:55], exec, s[54:55]
	s_cbranch_execz .LBB3_278
; %bb.272:                              ;   in Loop: Header=BB3_161 Depth=2
	v_cmp_eq_u32_e32 vcc, v5, v40
	s_mov_b64 s[58:59], 0
                                        ; implicit-def: $vgpr43
                                        ; implicit-def: $vgpr4
	s_and_saveexec_b64 s[56:57], vcc
	s_cbranch_execz .LBB3_290
; %bb.273:                              ;   in Loop: Header=BB3_161 Depth=2
	s_mov_b64 s[60:61], exec
	v_mbcnt_lo_u32_b32 v4, s60, 0
	v_mbcnt_hi_u32_b32 v4, s61, v4
	v_cmp_eq_u32_e32 vcc, 0, v4
                                        ; implicit-def: $vgpr5
	s_and_saveexec_b64 s[58:59], vcc
	s_cbranch_execz .LBB3_275
; %bb.274:                              ;   in Loop: Header=BB3_161 Depth=2
	s_bcnt1_i32_b64 s44, s[60:61]
	v_mov_b32_e32 v5, s44
	global_atomic_add v5, v29, v5, s[28:29] offset:512 glc
.LBB3_275:                              ;   in Loop: Header=BB3_161 Depth=2
	s_or_b64 exec, exec, s[58:59]
	s_waitcnt vmcnt(0)
	v_readfirstlane_b32 s44, v5
	v_add_u32_e32 v5, s44, v4
	v_cmp_lt_i32_e32 vcc, v5, v41
	s_mov_b64 s[60:61], 0
                                        ; implicit-def: $vgpr43
                                        ; implicit-def: $vgpr4
	s_and_saveexec_b64 s[58:59], vcc
	s_cbranch_execz .LBB3_289
; %bb.276:                              ;   in Loop: Header=BB3_161 Depth=2
	s_andn2_b64 vcc, exec, s[6:7]
	v_xad_u32 v4, v5, -1, s71
	s_cbranch_vccnz .LBB3_286
; %bb.277:                              ;   in Loop: Header=BB3_161 Depth=2
	v_ashrrev_i32_e32 v47, 31, v46
	v_lshlrev_b64 v[48:49], 2, v[46:47]
	v_mov_b32_e32 v5, s37
	v_add_co_u32_e32 v48, vcc, s31, v48
	v_addc_co_u32_e32 v49, vcc, v5, v49, vcc
	global_load_dword v43, v[48:49], off
	s_andn2_b64 vcc, exec, s[60:61]
	s_cbranch_vccz .LBB3_287
	s_branch .LBB3_288
.LBB3_278:                              ;   in Loop: Header=BB3_161 Depth=2
	s_andn2_saveexec_b64 s[54:55], s[54:55]
	s_cbranch_execz .LBB3_291
.LBB3_279:                              ;   in Loop: Header=BB3_161 Depth=2
	s_mov_b64 s[60:61], exec
	v_mbcnt_lo_u32_b32 v4, s60, 0
	v_mbcnt_hi_u32_b32 v4, s61, v4
	v_cmp_eq_u32_e32 vcc, 0, v4
                                        ; implicit-def: $vgpr5
	s_and_saveexec_b64 s[58:59], vcc
	s_cbranch_execz .LBB3_281
; %bb.280:                              ;   in Loop: Header=BB3_161 Depth=2
	s_bcnt1_i32_b64 s44, s[60:61]
	v_mov_b32_e32 v5, s44
	global_atomic_add v5, v29, v5, s[28:29] offset:384 glc
.LBB3_281:                              ;   in Loop: Header=BB3_161 Depth=2
	s_or_b64 exec, exec, s[58:59]
	s_waitcnt vmcnt(0)
	v_readfirstlane_b32 s44, v5
	s_andn2_b64 vcc, exec, s[6:7]
	v_add_u32_e32 v4, s44, v4
	s_cbranch_vccnz .LBB3_283
; %bb.282:                              ;   in Loop: Header=BB3_161 Depth=2
	v_ashrrev_i32_e32 v47, 31, v46
	v_lshlrev_b64 v[48:49], 2, v[46:47]
	v_mov_b32_e32 v5, s37
	v_add_co_u32_e32 v48, vcc, s31, v48
	v_addc_co_u32_e32 v49, vcc, v5, v49, vcc
	global_load_dword v43, v[48:49], off
	s_cbranch_execz .LBB3_284
	s_branch .LBB3_285
.LBB3_283:                              ;   in Loop: Header=BB3_161 Depth=2
                                        ; implicit-def: $vgpr43
.LBB3_284:                              ;   in Loop: Header=BB3_161 Depth=2
	s_waitcnt vmcnt(0)
	v_add_u32_e32 v43, s25, v37
.LBB3_285:                              ;   in Loop: Header=BB3_161 Depth=2
	s_or_b64 s[56:57], s[56:57], exec
	s_or_b64 exec, exec, s[54:55]
	s_and_saveexec_b64 s[54:55], s[56:57]
	s_cbranch_execnz .LBB3_292
	s_branch .LBB3_293
.LBB3_286:                              ;   in Loop: Header=BB3_161 Depth=2
                                        ; implicit-def: $vgpr43
.LBB3_287:                              ;   in Loop: Header=BB3_161 Depth=2
	s_waitcnt vmcnt(0)
	v_add_u32_e32 v43, s25, v37
.LBB3_288:                              ;   in Loop: Header=BB3_161 Depth=2
	s_mov_b64 s[60:61], exec
.LBB3_289:                              ;   in Loop: Header=BB3_161 Depth=2
	s_or_b64 exec, exec, s[58:59]
	s_and_b64 s[58:59], s[60:61], exec
.LBB3_290:                              ;   in Loop: Header=BB3_161 Depth=2
	s_or_b64 exec, exec, s[56:57]
	s_and_b64 s[56:57], s[58:59], exec
                                        ; implicit-def: $vgpr37
	s_andn2_saveexec_b64 s[54:55], s[54:55]
	s_cbranch_execnz .LBB3_279
.LBB3_291:                              ;   in Loop: Header=BB3_161 Depth=2
	s_or_b64 exec, exec, s[54:55]
	s_and_saveexec_b64 s[54:55], s[56:57]
	s_cbranch_execz .LBB3_293
.LBB3_292:                              ;   in Loop: Header=BB3_161 Depth=2
	v_ashrrev_i32_e32 v5, 31, v4
	v_lshlrev_b64 v[4:5], 2, v[4:5]
	v_mov_b32_e32 v37, s62
	v_add_co_u32_e32 v4, vcc, s33, v4
	v_addc_co_u32_e32 v5, vcc, v37, v5, vcc
	s_waitcnt vmcnt(0)
	global_store_dword v[4:5], v43, off
.LBB3_293:                              ;   in Loop: Header=BB3_161 Depth=2
	s_or_b64 exec, exec, s[54:55]
	v_cmp_gt_i32_e32 vcc, 0, v6
	v_cndmask_b32_e64 v4, v61, 0, vcc
	v_xor_b32_e32 v37, v4, v6
	v_add_u32_e32 v5, 2, v46
	v_cmp_ge_u32_e32 vcc, v37, v40
	s_mov_b64 s[56:57], 0
                                        ; implicit-def: $vgpr6
                                        ; implicit-def: $vgpr4
	s_and_saveexec_b64 s[54:55], vcc
	s_xor_b64 s[54:55], exec, s[54:55]
	s_cbranch_execz .LBB3_300
; %bb.294:                              ;   in Loop: Header=BB3_161 Depth=2
	v_cmp_eq_u32_e32 vcc, v37, v40
	s_mov_b64 s[58:59], 0
                                        ; implicit-def: $vgpr6
                                        ; implicit-def: $vgpr4
	s_and_saveexec_b64 s[56:57], vcc
	s_cbranch_execz .LBB3_312
; %bb.295:                              ;   in Loop: Header=BB3_161 Depth=2
	s_mov_b64 s[60:61], exec
	v_mbcnt_lo_u32_b32 v4, s60, 0
	v_mbcnt_hi_u32_b32 v4, s61, v4
	v_cmp_eq_u32_e32 vcc, 0, v4
                                        ; implicit-def: $vgpr6
	s_and_saveexec_b64 s[58:59], vcc
	s_cbranch_execz .LBB3_297
; %bb.296:                              ;   in Loop: Header=BB3_161 Depth=2
	s_bcnt1_i32_b64 s44, s[60:61]
	v_mov_b32_e32 v6, s44
	global_atomic_add v6, v29, v6, s[28:29] offset:512 glc
.LBB3_297:                              ;   in Loop: Header=BB3_161 Depth=2
	s_or_b64 exec, exec, s[58:59]
	s_waitcnt vmcnt(0)
	v_readfirstlane_b32 s44, v6
	v_add_u32_e32 v37, s44, v4
	v_cmp_lt_i32_e32 vcc, v37, v41
	s_mov_b64 s[60:61], 0
                                        ; implicit-def: $vgpr6
                                        ; implicit-def: $vgpr4
	s_and_saveexec_b64 s[58:59], vcc
	s_cbranch_execz .LBB3_311
; %bb.298:                              ;   in Loop: Header=BB3_161 Depth=2
	s_andn2_b64 vcc, exec, s[6:7]
	v_xad_u32 v4, v37, -1, s71
	s_cbranch_vccnz .LBB3_308
; %bb.299:                              ;   in Loop: Header=BB3_161 Depth=2
	v_ashrrev_i32_e32 v47, 31, v46
	v_lshlrev_b64 v[48:49], 2, v[46:47]
	v_mov_b32_e32 v6, s65
	v_add_co_u32_e32 v48, vcc, s64, v48
	v_addc_co_u32_e32 v49, vcc, v6, v49, vcc
	global_load_dword v6, v[48:49], off
	s_andn2_b64 vcc, exec, s[60:61]
	s_cbranch_vccz .LBB3_309
	s_branch .LBB3_310
.LBB3_300:                              ;   in Loop: Header=BB3_161 Depth=2
	s_andn2_saveexec_b64 s[54:55], s[54:55]
	s_cbranch_execz .LBB3_313
.LBB3_301:                              ;   in Loop: Header=BB3_161 Depth=2
	s_mov_b64 s[60:61], exec
	v_mbcnt_lo_u32_b32 v4, s60, 0
	v_mbcnt_hi_u32_b32 v4, s61, v4
	v_cmp_eq_u32_e32 vcc, 0, v4
                                        ; implicit-def: $vgpr6
	s_and_saveexec_b64 s[58:59], vcc
	s_cbranch_execz .LBB3_303
; %bb.302:                              ;   in Loop: Header=BB3_161 Depth=2
	s_bcnt1_i32_b64 s44, s[60:61]
	s_waitcnt vmcnt(0)
	v_mov_b32_e32 v6, s44
	global_atomic_add v6, v29, v6, s[28:29] offset:384 glc
.LBB3_303:                              ;   in Loop: Header=BB3_161 Depth=2
	s_or_b64 exec, exec, s[58:59]
	s_waitcnt vmcnt(0)
	v_readfirstlane_b32 s44, v6
	s_andn2_b64 vcc, exec, s[6:7]
	v_add_u32_e32 v4, s44, v4
	s_cbranch_vccnz .LBB3_305
; %bb.304:                              ;   in Loop: Header=BB3_161 Depth=2
	v_ashrrev_i32_e32 v47, 31, v46
	v_lshlrev_b64 v[48:49], 2, v[46:47]
	v_mov_b32_e32 v6, s65
	v_add_co_u32_e32 v48, vcc, s64, v48
	v_addc_co_u32_e32 v49, vcc, v6, v49, vcc
	global_load_dword v6, v[48:49], off
	s_cbranch_execz .LBB3_306
	s_branch .LBB3_307
.LBB3_305:                              ;   in Loop: Header=BB3_161 Depth=2
                                        ; implicit-def: $vgpr6
.LBB3_306:                              ;   in Loop: Header=BB3_161 Depth=2
	s_waitcnt vmcnt(0)
	v_add_u32_e32 v6, s25, v5
.LBB3_307:                              ;   in Loop: Header=BB3_161 Depth=2
	s_or_b64 s[56:57], s[56:57], exec
	s_or_b64 exec, exec, s[54:55]
	s_and_saveexec_b64 s[54:55], s[56:57]
	s_cbranch_execnz .LBB3_314
	s_branch .LBB3_315
.LBB3_308:                              ;   in Loop: Header=BB3_161 Depth=2
                                        ; implicit-def: $vgpr6
.LBB3_309:                              ;   in Loop: Header=BB3_161 Depth=2
	s_waitcnt vmcnt(0)
	v_add_u32_e32 v6, s25, v5
.LBB3_310:                              ;   in Loop: Header=BB3_161 Depth=2
	s_mov_b64 s[60:61], exec
.LBB3_311:                              ;   in Loop: Header=BB3_161 Depth=2
	s_or_b64 exec, exec, s[58:59]
	s_and_b64 s[58:59], s[60:61], exec
.LBB3_312:                              ;   in Loop: Header=BB3_161 Depth=2
	s_or_b64 exec, exec, s[56:57]
	s_and_b64 s[56:57], s[58:59], exec
                                        ; implicit-def: $vgpr5
	s_andn2_saveexec_b64 s[54:55], s[54:55]
	s_cbranch_execnz .LBB3_301
.LBB3_313:                              ;   in Loop: Header=BB3_161 Depth=2
	s_or_b64 exec, exec, s[54:55]
	s_and_saveexec_b64 s[54:55], s[56:57]
	s_cbranch_execz .LBB3_315
.LBB3_314:                              ;   in Loop: Header=BB3_161 Depth=2
	v_ashrrev_i32_e32 v5, 31, v4
	v_lshlrev_b64 v[4:5], 2, v[4:5]
	v_mov_b32_e32 v37, s62
	v_add_co_u32_e32 v4, vcc, s33, v4
	v_addc_co_u32_e32 v5, vcc, v37, v5, vcc
	s_waitcnt vmcnt(0)
	global_store_dword v[4:5], v6, off
.LBB3_315:                              ;   in Loop: Header=BB3_161 Depth=2
	s_or_b64 exec, exec, s[54:55]
	v_cmp_gt_i32_e32 vcc, 0, v7
	v_cndmask_b32_e64 v4, v61, 0, vcc
	v_xor_b32_e32 v7, v4, v7
	v_add_u32_e32 v5, 3, v46
	v_cmp_ge_u32_e32 vcc, v7, v40
	s_mov_b64 s[56:57], 0
                                        ; implicit-def: $vgpr6
                                        ; implicit-def: $vgpr4
	s_and_saveexec_b64 s[54:55], vcc
	s_xor_b64 s[54:55], exec, s[54:55]
	s_cbranch_execz .LBB3_322
; %bb.316:                              ;   in Loop: Header=BB3_161 Depth=2
	v_cmp_eq_u32_e32 vcc, v7, v40
	s_mov_b64 s[58:59], 0
                                        ; implicit-def: $vgpr6
                                        ; implicit-def: $vgpr4
	s_and_saveexec_b64 s[56:57], vcc
	s_cbranch_execz .LBB3_334
; %bb.317:                              ;   in Loop: Header=BB3_161 Depth=2
	s_mov_b64 s[60:61], exec
	v_mbcnt_lo_u32_b32 v4, s60, 0
	v_mbcnt_hi_u32_b32 v4, s61, v4
	v_cmp_eq_u32_e32 vcc, 0, v4
                                        ; implicit-def: $vgpr6
	s_and_saveexec_b64 s[58:59], vcc
	s_cbranch_execz .LBB3_319
; %bb.318:                              ;   in Loop: Header=BB3_161 Depth=2
	s_bcnt1_i32_b64 s44, s[60:61]
	s_waitcnt vmcnt(0)
	v_mov_b32_e32 v6, s44
	global_atomic_add v6, v29, v6, s[28:29] offset:512 glc
.LBB3_319:                              ;   in Loop: Header=BB3_161 Depth=2
	s_or_b64 exec, exec, s[58:59]
	s_waitcnt vmcnt(0)
	v_readfirstlane_b32 s44, v6
	v_add_u32_e32 v7, s44, v4
	v_cmp_lt_i32_e32 vcc, v7, v41
	s_mov_b64 s[60:61], 0
                                        ; implicit-def: $vgpr6
                                        ; implicit-def: $vgpr4
	s_and_saveexec_b64 s[58:59], vcc
	s_cbranch_execz .LBB3_333
; %bb.320:                              ;   in Loop: Header=BB3_161 Depth=2
	s_andn2_b64 vcc, exec, s[6:7]
	v_xad_u32 v4, v7, -1, s71
	s_cbranch_vccnz .LBB3_330
; %bb.321:                              ;   in Loop: Header=BB3_161 Depth=2
	v_ashrrev_i32_e32 v47, 31, v46
	v_lshlrev_b64 v[6:7], 2, v[46:47]
	v_mov_b32_e32 v37, s67
	v_add_co_u32_e32 v6, vcc, s66, v6
	v_addc_co_u32_e32 v7, vcc, v37, v7, vcc
	global_load_dword v6, v[6:7], off
	s_andn2_b64 vcc, exec, s[60:61]
	s_cbranch_vccz .LBB3_331
	s_branch .LBB3_332
.LBB3_322:                              ;   in Loop: Header=BB3_161 Depth=2
	s_andn2_saveexec_b64 s[54:55], s[54:55]
	s_cbranch_execz .LBB3_335
.LBB3_323:                              ;   in Loop: Header=BB3_161 Depth=2
	s_mov_b64 s[60:61], exec
	v_mbcnt_lo_u32_b32 v4, s60, 0
	v_mbcnt_hi_u32_b32 v4, s61, v4
	v_cmp_eq_u32_e32 vcc, 0, v4
                                        ; implicit-def: $vgpr6
	s_and_saveexec_b64 s[58:59], vcc
	s_cbranch_execz .LBB3_325
; %bb.324:                              ;   in Loop: Header=BB3_161 Depth=2
	s_bcnt1_i32_b64 s44, s[60:61]
	s_waitcnt vmcnt(0)
	v_mov_b32_e32 v6, s44
	global_atomic_add v6, v29, v6, s[28:29] offset:384 glc
.LBB3_325:                              ;   in Loop: Header=BB3_161 Depth=2
	s_or_b64 exec, exec, s[58:59]
	s_waitcnt vmcnt(0)
	v_readfirstlane_b32 s44, v6
	s_andn2_b64 vcc, exec, s[6:7]
	v_add_u32_e32 v4, s44, v4
	s_cbranch_vccnz .LBB3_327
; %bb.326:                              ;   in Loop: Header=BB3_161 Depth=2
	v_ashrrev_i32_e32 v47, 31, v46
	v_lshlrev_b64 v[6:7], 2, v[46:47]
	v_mov_b32_e32 v37, s67
	v_add_co_u32_e32 v6, vcc, s66, v6
	v_addc_co_u32_e32 v7, vcc, v37, v7, vcc
	global_load_dword v6, v[6:7], off
	s_cbranch_execz .LBB3_328
	s_branch .LBB3_329
.LBB3_327:                              ;   in Loop: Header=BB3_161 Depth=2
                                        ; implicit-def: $vgpr6
.LBB3_328:                              ;   in Loop: Header=BB3_161 Depth=2
	s_waitcnt vmcnt(0)
	v_add_u32_e32 v6, s25, v5
.LBB3_329:                              ;   in Loop: Header=BB3_161 Depth=2
	s_or_b64 s[56:57], s[56:57], exec
	s_or_b64 exec, exec, s[54:55]
	s_and_saveexec_b64 s[54:55], s[56:57]
	s_cbranch_execnz .LBB3_336
	s_branch .LBB3_337
.LBB3_330:                              ;   in Loop: Header=BB3_161 Depth=2
                                        ; implicit-def: $vgpr6
.LBB3_331:                              ;   in Loop: Header=BB3_161 Depth=2
	s_waitcnt vmcnt(0)
	v_add_u32_e32 v6, s25, v5
.LBB3_332:                              ;   in Loop: Header=BB3_161 Depth=2
	s_mov_b64 s[60:61], exec
.LBB3_333:                              ;   in Loop: Header=BB3_161 Depth=2
	s_or_b64 exec, exec, s[58:59]
	s_and_b64 s[58:59], s[60:61], exec
.LBB3_334:                              ;   in Loop: Header=BB3_161 Depth=2
	s_or_b64 exec, exec, s[56:57]
	s_and_b64 s[56:57], s[58:59], exec
                                        ; implicit-def: $vgpr5
                                        ; implicit-def: $vgpr46
	s_andn2_saveexec_b64 s[54:55], s[54:55]
	s_cbranch_execnz .LBB3_323
.LBB3_335:                              ;   in Loop: Header=BB3_161 Depth=2
	s_or_b64 exec, exec, s[54:55]
	s_and_saveexec_b64 s[54:55], s[56:57]
	s_cbranch_execz .LBB3_337
.LBB3_336:                              ;   in Loop: Header=BB3_161 Depth=2
	v_ashrrev_i32_e32 v5, 31, v4
	v_lshlrev_b64 v[4:5], 2, v[4:5]
	v_mov_b32_e32 v7, s62
	v_add_co_u32_e32 v4, vcc, s33, v4
	v_addc_co_u32_e32 v5, vcc, v7, v5, vcc
	s_waitcnt vmcnt(0)
	global_store_dword v[4:5], v6, off
.LBB3_337:                              ;   in Loop: Header=BB3_161 Depth=2
	s_or_b64 exec, exec, s[54:55]
	v_cmp_gt_i32_e32 vcc, 0, v8
	v_cndmask_b32_e64 v5, v61, 0, vcc
	v_add_u32_e32 v4, s30, v28
	v_xor_b32_e32 v7, v5, v8
	v_lshl_add_u32 v4, v4, 2, s36
	v_cmp_ge_u32_e32 vcc, v7, v40
	s_mov_b64 s[56:57], 0
                                        ; implicit-def: $vgpr5
                                        ; implicit-def: $vgpr6
	s_and_saveexec_b64 s[54:55], vcc
	s_xor_b64 s[54:55], exec, s[54:55]
	s_cbranch_execz .LBB3_344
; %bb.338:                              ;   in Loop: Header=BB3_161 Depth=2
	v_cmp_eq_u32_e32 vcc, v7, v40
	s_mov_b64 s[58:59], 0
                                        ; implicit-def: $vgpr5
                                        ; implicit-def: $vgpr6
	s_and_saveexec_b64 s[56:57], vcc
	s_cbranch_execz .LBB3_356
; %bb.339:                              ;   in Loop: Header=BB3_161 Depth=2
	s_mov_b64 s[60:61], exec
	v_mbcnt_lo_u32_b32 v5, s60, 0
	v_mbcnt_hi_u32_b32 v5, s61, v5
	v_cmp_eq_u32_e32 vcc, 0, v5
                                        ; implicit-def: $vgpr6
	s_and_saveexec_b64 s[58:59], vcc
	s_cbranch_execz .LBB3_341
; %bb.340:                              ;   in Loop: Header=BB3_161 Depth=2
	s_bcnt1_i32_b64 s44, s[60:61]
	s_waitcnt vmcnt(0)
	v_mov_b32_e32 v6, s44
	global_atomic_add v6, v29, v6, s[28:29] offset:512 glc
.LBB3_341:                              ;   in Loop: Header=BB3_161 Depth=2
	s_or_b64 exec, exec, s[58:59]
	s_waitcnt vmcnt(0)
	v_readfirstlane_b32 s44, v6
	v_add_u32_e32 v7, s44, v5
	v_cmp_lt_i32_e32 vcc, v7, v41
	s_mov_b64 s[60:61], 0
                                        ; implicit-def: $vgpr5
                                        ; implicit-def: $vgpr6
	s_and_saveexec_b64 s[58:59], vcc
	s_xor_b64 s[58:59], exec, s[58:59]
	s_cbranch_execz .LBB3_355
; %bb.342:                              ;   in Loop: Header=BB3_161 Depth=2
	s_andn2_b64 vcc, exec, s[6:7]
	v_xad_u32 v6, v7, -1, s71
	s_cbranch_vccnz .LBB3_352
; %bb.343:                              ;   in Loop: Header=BB3_161 Depth=2
	v_ashrrev_i32_e32 v5, 31, v4
	v_lshlrev_b64 v[46:47], 2, v[4:5]
	v_mov_b32_e32 v5, s27
	v_add_co_u32_e32 v46, vcc, s26, v46
	v_addc_co_u32_e32 v47, vcc, v5, v47, vcc
	global_load_dword v5, v[46:47], off
	s_andn2_b64 vcc, exec, s[60:61]
	s_cbranch_vccz .LBB3_353
	s_branch .LBB3_354
.LBB3_344:                              ;   in Loop: Header=BB3_161 Depth=2
	s_andn2_saveexec_b64 s[54:55], s[54:55]
	s_cbranch_execz .LBB3_357
.LBB3_345:                              ;   in Loop: Header=BB3_161 Depth=2
	s_mov_b64 s[60:61], exec
	s_waitcnt vmcnt(0)
	v_mbcnt_lo_u32_b32 v5, s60, 0
	v_mbcnt_hi_u32_b32 v5, s61, v5
	v_cmp_eq_u32_e32 vcc, 0, v5
                                        ; implicit-def: $vgpr6
	s_and_saveexec_b64 s[58:59], vcc
	s_cbranch_execz .LBB3_347
; %bb.346:                              ;   in Loop: Header=BB3_161 Depth=2
	s_bcnt1_i32_b64 s44, s[60:61]
	v_mov_b32_e32 v6, s44
	global_atomic_add v6, v29, v6, s[28:29] offset:384 glc
.LBB3_347:                              ;   in Loop: Header=BB3_161 Depth=2
	s_or_b64 exec, exec, s[58:59]
	s_waitcnt vmcnt(0)
	v_readfirstlane_b32 s44, v6
	s_andn2_b64 vcc, exec, s[6:7]
	v_add_u32_e32 v6, s44, v5
	s_cbranch_vccnz .LBB3_349
; %bb.348:                              ;   in Loop: Header=BB3_161 Depth=2
	v_ashrrev_i32_e32 v5, 31, v4
	v_lshlrev_b64 v[46:47], 2, v[4:5]
	v_mov_b32_e32 v5, s27
	v_add_co_u32_e32 v46, vcc, s26, v46
	v_addc_co_u32_e32 v47, vcc, v5, v47, vcc
	global_load_dword v5, v[46:47], off
	s_cbranch_execz .LBB3_350
	s_branch .LBB3_351
.LBB3_349:                              ;   in Loop: Header=BB3_161 Depth=2
                                        ; implicit-def: $vgpr5
.LBB3_350:                              ;   in Loop: Header=BB3_161 Depth=2
	s_waitcnt vmcnt(0)
	v_add_u32_e32 v5, s25, v4
.LBB3_351:                              ;   in Loop: Header=BB3_161 Depth=2
	s_or_b64 s[56:57], s[56:57], exec
	s_or_b64 exec, exec, s[54:55]
	s_and_saveexec_b64 s[54:55], s[56:57]
	s_cbranch_execnz .LBB3_358
	s_branch .LBB3_359
.LBB3_352:                              ;   in Loop: Header=BB3_161 Depth=2
                                        ; implicit-def: $vgpr5
.LBB3_353:                              ;   in Loop: Header=BB3_161 Depth=2
	s_waitcnt vmcnt(0)
	v_add_u32_e32 v5, s25, v4
.LBB3_354:                              ;   in Loop: Header=BB3_161 Depth=2
	s_mov_b64 s[60:61], exec
.LBB3_355:                              ;   in Loop: Header=BB3_161 Depth=2
	s_or_b64 exec, exec, s[58:59]
	s_and_b64 s[58:59], s[60:61], exec
.LBB3_356:                              ;   in Loop: Header=BB3_161 Depth=2
	s_or_b64 exec, exec, s[56:57]
	s_and_b64 s[56:57], s[58:59], exec
	s_andn2_saveexec_b64 s[54:55], s[54:55]
	s_cbranch_execnz .LBB3_345
.LBB3_357:                              ;   in Loop: Header=BB3_161 Depth=2
	s_or_b64 exec, exec, s[54:55]
	s_and_saveexec_b64 s[54:55], s[56:57]
	s_cbranch_execz .LBB3_359
.LBB3_358:                              ;   in Loop: Header=BB3_161 Depth=2
	s_waitcnt vmcnt(0)
	v_ashrrev_i32_e32 v7, 31, v6
	v_lshlrev_b64 v[6:7], 2, v[6:7]
	v_mov_b32_e32 v8, s62
	v_add_co_u32_e32 v6, vcc, s33, v6
	v_addc_co_u32_e32 v7, vcc, v8, v7, vcc
	global_store_dword v[6:7], v5, off
.LBB3_359:                              ;   in Loop: Header=BB3_161 Depth=2
	s_or_b64 exec, exec, s[54:55]
	v_cmp_gt_i32_e32 vcc, 0, v9
	s_waitcnt vmcnt(0)
	v_cndmask_b32_e64 v5, v61, 0, vcc
	v_xor_b32_e32 v8, v5, v9
	v_add_u32_e32 v7, 1, v4
	v_cmp_ge_u32_e32 vcc, v8, v40
	s_mov_b64 s[56:57], 0
                                        ; implicit-def: $vgpr5
                                        ; implicit-def: $vgpr6
	s_and_saveexec_b64 s[54:55], vcc
	s_xor_b64 s[54:55], exec, s[54:55]
	s_cbranch_execz .LBB3_366
; %bb.360:                              ;   in Loop: Header=BB3_161 Depth=2
	v_cmp_eq_u32_e32 vcc, v8, v40
	s_mov_b64 s[58:59], 0
                                        ; implicit-def: $vgpr5
                                        ; implicit-def: $vgpr6
	s_and_saveexec_b64 s[56:57], vcc
	s_cbranch_execz .LBB3_378
; %bb.361:                              ;   in Loop: Header=BB3_161 Depth=2
	s_mov_b64 s[60:61], exec
	v_mbcnt_lo_u32_b32 v5, s60, 0
	v_mbcnt_hi_u32_b32 v5, s61, v5
	v_cmp_eq_u32_e32 vcc, 0, v5
                                        ; implicit-def: $vgpr6
	s_and_saveexec_b64 s[58:59], vcc
	s_cbranch_execz .LBB3_363
; %bb.362:                              ;   in Loop: Header=BB3_161 Depth=2
	s_bcnt1_i32_b64 s44, s[60:61]
	v_mov_b32_e32 v6, s44
	global_atomic_add v6, v29, v6, s[28:29] offset:512 glc
.LBB3_363:                              ;   in Loop: Header=BB3_161 Depth=2
	s_or_b64 exec, exec, s[58:59]
	s_waitcnt vmcnt(0)
	v_readfirstlane_b32 s44, v6
	v_add_u32_e32 v8, s44, v5
	v_cmp_lt_i32_e32 vcc, v8, v41
	s_mov_b64 s[60:61], 0
                                        ; implicit-def: $vgpr5
                                        ; implicit-def: $vgpr6
	s_and_saveexec_b64 s[58:59], vcc
	s_cbranch_execz .LBB3_377
; %bb.364:                              ;   in Loop: Header=BB3_161 Depth=2
	s_andn2_b64 vcc, exec, s[6:7]
	v_xad_u32 v6, v8, -1, s71
	s_cbranch_vccnz .LBB3_374
; %bb.365:                              ;   in Loop: Header=BB3_161 Depth=2
	v_ashrrev_i32_e32 v5, 31, v4
	v_lshlrev_b64 v[8:9], 2, v[4:5]
	v_mov_b32_e32 v5, s37
	v_add_co_u32_e32 v8, vcc, s31, v8
	v_addc_co_u32_e32 v9, vcc, v5, v9, vcc
	global_load_dword v5, v[8:9], off
	s_andn2_b64 vcc, exec, s[60:61]
	s_cbranch_vccz .LBB3_375
	s_branch .LBB3_376
.LBB3_366:                              ;   in Loop: Header=BB3_161 Depth=2
	s_andn2_saveexec_b64 s[54:55], s[54:55]
	s_cbranch_execz .LBB3_379
.LBB3_367:                              ;   in Loop: Header=BB3_161 Depth=2
	s_mov_b64 s[60:61], exec
	s_waitcnt vmcnt(0)
	v_mbcnt_lo_u32_b32 v5, s60, 0
	v_mbcnt_hi_u32_b32 v5, s61, v5
	v_cmp_eq_u32_e32 vcc, 0, v5
                                        ; implicit-def: $vgpr6
	s_and_saveexec_b64 s[58:59], vcc
	s_cbranch_execz .LBB3_369
; %bb.368:                              ;   in Loop: Header=BB3_161 Depth=2
	s_bcnt1_i32_b64 s44, s[60:61]
	v_mov_b32_e32 v6, s44
	global_atomic_add v6, v29, v6, s[28:29] offset:384 glc
.LBB3_369:                              ;   in Loop: Header=BB3_161 Depth=2
	s_or_b64 exec, exec, s[58:59]
	s_waitcnt vmcnt(0)
	v_readfirstlane_b32 s44, v6
	s_andn2_b64 vcc, exec, s[6:7]
	v_add_u32_e32 v6, s44, v5
	s_cbranch_vccnz .LBB3_371
; %bb.370:                              ;   in Loop: Header=BB3_161 Depth=2
	v_ashrrev_i32_e32 v5, 31, v4
	v_lshlrev_b64 v[8:9], 2, v[4:5]
	v_mov_b32_e32 v5, s37
	v_add_co_u32_e32 v8, vcc, s31, v8
	v_addc_co_u32_e32 v9, vcc, v5, v9, vcc
	global_load_dword v5, v[8:9], off
	s_cbranch_execz .LBB3_372
	s_branch .LBB3_373
.LBB3_371:                              ;   in Loop: Header=BB3_161 Depth=2
                                        ; implicit-def: $vgpr5
.LBB3_372:                              ;   in Loop: Header=BB3_161 Depth=2
	s_waitcnt vmcnt(0)
	v_add_u32_e32 v5, s25, v7
.LBB3_373:                              ;   in Loop: Header=BB3_161 Depth=2
	s_or_b64 s[56:57], s[56:57], exec
	s_or_b64 exec, exec, s[54:55]
	s_and_saveexec_b64 s[54:55], s[56:57]
	s_cbranch_execnz .LBB3_380
	s_branch .LBB3_381
.LBB3_374:                              ;   in Loop: Header=BB3_161 Depth=2
                                        ; implicit-def: $vgpr5
.LBB3_375:                              ;   in Loop: Header=BB3_161 Depth=2
	s_waitcnt vmcnt(0)
	v_add_u32_e32 v5, s25, v7
.LBB3_376:                              ;   in Loop: Header=BB3_161 Depth=2
	s_mov_b64 s[60:61], exec
.LBB3_377:                              ;   in Loop: Header=BB3_161 Depth=2
	s_or_b64 exec, exec, s[58:59]
	s_and_b64 s[58:59], s[60:61], exec
.LBB3_378:                              ;   in Loop: Header=BB3_161 Depth=2
	s_or_b64 exec, exec, s[56:57]
	s_and_b64 s[56:57], s[58:59], exec
                                        ; implicit-def: $vgpr7
	s_andn2_saveexec_b64 s[54:55], s[54:55]
	s_cbranch_execnz .LBB3_367
.LBB3_379:                              ;   in Loop: Header=BB3_161 Depth=2
	s_or_b64 exec, exec, s[54:55]
	s_and_saveexec_b64 s[54:55], s[56:57]
	s_cbranch_execz .LBB3_381
.LBB3_380:                              ;   in Loop: Header=BB3_161 Depth=2
	v_ashrrev_i32_e32 v7, 31, v6
	v_lshlrev_b64 v[6:7], 2, v[6:7]
	v_mov_b32_e32 v8, s62
	v_add_co_u32_e32 v6, vcc, s33, v6
	v_addc_co_u32_e32 v7, vcc, v8, v7, vcc
	s_waitcnt vmcnt(0)
	global_store_dword v[6:7], v5, off
.LBB3_381:                              ;   in Loop: Header=BB3_161 Depth=2
	s_or_b64 exec, exec, s[54:55]
	v_cmp_gt_i32_e32 vcc, 0, v10
	s_waitcnt vmcnt(0)
	v_cndmask_b32_e64 v5, v61, 0, vcc
	v_xor_b32_e32 v8, v5, v10
	v_add_u32_e32 v7, 2, v4
	v_cmp_ge_u32_e32 vcc, v8, v40
	s_mov_b64 s[56:57], 0
                                        ; implicit-def: $vgpr5
                                        ; implicit-def: $vgpr6
	s_and_saveexec_b64 s[54:55], vcc
	s_xor_b64 s[54:55], exec, s[54:55]
	s_cbranch_execz .LBB3_388
; %bb.382:                              ;   in Loop: Header=BB3_161 Depth=2
	v_cmp_eq_u32_e32 vcc, v8, v40
	s_mov_b64 s[58:59], 0
                                        ; implicit-def: $vgpr5
                                        ; implicit-def: $vgpr6
	s_and_saveexec_b64 s[56:57], vcc
	s_cbranch_execz .LBB3_400
; %bb.383:                              ;   in Loop: Header=BB3_161 Depth=2
	s_mov_b64 s[60:61], exec
	v_mbcnt_lo_u32_b32 v5, s60, 0
	v_mbcnt_hi_u32_b32 v5, s61, v5
	v_cmp_eq_u32_e32 vcc, 0, v5
                                        ; implicit-def: $vgpr6
	s_and_saveexec_b64 s[58:59], vcc
	s_cbranch_execz .LBB3_385
; %bb.384:                              ;   in Loop: Header=BB3_161 Depth=2
	s_bcnt1_i32_b64 s44, s[60:61]
	v_mov_b32_e32 v6, s44
	global_atomic_add v6, v29, v6, s[28:29] offset:512 glc
.LBB3_385:                              ;   in Loop: Header=BB3_161 Depth=2
	s_or_b64 exec, exec, s[58:59]
	s_waitcnt vmcnt(0)
	v_readfirstlane_b32 s44, v6
	v_add_u32_e32 v8, s44, v5
	v_cmp_lt_i32_e32 vcc, v8, v41
	s_mov_b64 s[60:61], 0
                                        ; implicit-def: $vgpr5
                                        ; implicit-def: $vgpr6
	s_and_saveexec_b64 s[58:59], vcc
	s_cbranch_execz .LBB3_399
; %bb.386:                              ;   in Loop: Header=BB3_161 Depth=2
	s_andn2_b64 vcc, exec, s[6:7]
	v_xad_u32 v6, v8, -1, s71
	s_cbranch_vccnz .LBB3_396
; %bb.387:                              ;   in Loop: Header=BB3_161 Depth=2
	v_ashrrev_i32_e32 v5, 31, v4
	v_lshlrev_b64 v[8:9], 2, v[4:5]
	v_mov_b32_e32 v5, s65
	v_add_co_u32_e32 v8, vcc, s64, v8
	v_addc_co_u32_e32 v9, vcc, v5, v9, vcc
	global_load_dword v5, v[8:9], off
	s_andn2_b64 vcc, exec, s[60:61]
	s_cbranch_vccz .LBB3_397
	s_branch .LBB3_398
.LBB3_388:                              ;   in Loop: Header=BB3_161 Depth=2
	s_andn2_saveexec_b64 s[54:55], s[54:55]
	s_cbranch_execz .LBB3_401
.LBB3_389:                              ;   in Loop: Header=BB3_161 Depth=2
	s_mov_b64 s[60:61], exec
	s_waitcnt vmcnt(0)
	v_mbcnt_lo_u32_b32 v5, s60, 0
	v_mbcnt_hi_u32_b32 v5, s61, v5
	v_cmp_eq_u32_e32 vcc, 0, v5
                                        ; implicit-def: $vgpr6
	s_and_saveexec_b64 s[58:59], vcc
	s_cbranch_execz .LBB3_391
; %bb.390:                              ;   in Loop: Header=BB3_161 Depth=2
	s_bcnt1_i32_b64 s44, s[60:61]
	v_mov_b32_e32 v6, s44
	global_atomic_add v6, v29, v6, s[28:29] offset:384 glc
.LBB3_391:                              ;   in Loop: Header=BB3_161 Depth=2
	s_or_b64 exec, exec, s[58:59]
	s_waitcnt vmcnt(0)
	v_readfirstlane_b32 s44, v6
	s_andn2_b64 vcc, exec, s[6:7]
	v_add_u32_e32 v6, s44, v5
	s_cbranch_vccnz .LBB3_393
; %bb.392:                              ;   in Loop: Header=BB3_161 Depth=2
	v_ashrrev_i32_e32 v5, 31, v4
	v_lshlrev_b64 v[8:9], 2, v[4:5]
	v_mov_b32_e32 v5, s65
	v_add_co_u32_e32 v8, vcc, s64, v8
	v_addc_co_u32_e32 v9, vcc, v5, v9, vcc
	global_load_dword v5, v[8:9], off
	s_cbranch_execz .LBB3_394
	s_branch .LBB3_395
.LBB3_393:                              ;   in Loop: Header=BB3_161 Depth=2
                                        ; implicit-def: $vgpr5
.LBB3_394:                              ;   in Loop: Header=BB3_161 Depth=2
	s_waitcnt vmcnt(0)
	v_add_u32_e32 v5, s25, v7
.LBB3_395:                              ;   in Loop: Header=BB3_161 Depth=2
	s_or_b64 s[56:57], s[56:57], exec
	s_or_b64 exec, exec, s[54:55]
	s_and_saveexec_b64 s[54:55], s[56:57]
	s_cbranch_execnz .LBB3_402
	s_branch .LBB3_403
.LBB3_396:                              ;   in Loop: Header=BB3_161 Depth=2
                                        ; implicit-def: $vgpr5
.LBB3_397:                              ;   in Loop: Header=BB3_161 Depth=2
	s_waitcnt vmcnt(0)
	v_add_u32_e32 v5, s25, v7
.LBB3_398:                              ;   in Loop: Header=BB3_161 Depth=2
	s_mov_b64 s[60:61], exec
.LBB3_399:                              ;   in Loop: Header=BB3_161 Depth=2
	s_or_b64 exec, exec, s[58:59]
	s_and_b64 s[58:59], s[60:61], exec
.LBB3_400:                              ;   in Loop: Header=BB3_161 Depth=2
	s_or_b64 exec, exec, s[56:57]
	s_and_b64 s[56:57], s[58:59], exec
                                        ; implicit-def: $vgpr7
	s_andn2_saveexec_b64 s[54:55], s[54:55]
	s_cbranch_execnz .LBB3_389
.LBB3_401:                              ;   in Loop: Header=BB3_161 Depth=2
	s_or_b64 exec, exec, s[54:55]
	s_and_saveexec_b64 s[54:55], s[56:57]
	s_cbranch_execz .LBB3_403
.LBB3_402:                              ;   in Loop: Header=BB3_161 Depth=2
	v_ashrrev_i32_e32 v7, 31, v6
	v_lshlrev_b64 v[6:7], 2, v[6:7]
	v_mov_b32_e32 v8, s62
	v_add_co_u32_e32 v6, vcc, s33, v6
	v_addc_co_u32_e32 v7, vcc, v8, v7, vcc
	s_waitcnt vmcnt(0)
	global_store_dword v[6:7], v5, off
.LBB3_403:                              ;   in Loop: Header=BB3_161 Depth=2
	s_or_b64 exec, exec, s[54:55]
	v_cmp_gt_i32_e32 vcc, 0, v11
	s_waitcnt vmcnt(0)
	v_cndmask_b32_e64 v5, v61, 0, vcc
	v_xor_b32_e32 v8, v5, v11
	v_add_u32_e32 v7, 3, v4
	v_cmp_ge_u32_e32 vcc, v8, v40
	s_mov_b64 s[56:57], 0
                                        ; implicit-def: $vgpr5
                                        ; implicit-def: $vgpr6
	s_and_saveexec_b64 s[54:55], vcc
	s_xor_b64 s[54:55], exec, s[54:55]
	s_cbranch_execz .LBB3_410
; %bb.404:                              ;   in Loop: Header=BB3_161 Depth=2
	v_cmp_eq_u32_e32 vcc, v8, v40
	s_mov_b64 s[58:59], 0
                                        ; implicit-def: $vgpr5
                                        ; implicit-def: $vgpr6
	s_and_saveexec_b64 s[56:57], vcc
	s_cbranch_execz .LBB3_422
; %bb.405:                              ;   in Loop: Header=BB3_161 Depth=2
	s_mov_b64 s[60:61], exec
	v_mbcnt_lo_u32_b32 v5, s60, 0
	v_mbcnt_hi_u32_b32 v5, s61, v5
	v_cmp_eq_u32_e32 vcc, 0, v5
                                        ; implicit-def: $vgpr6
	s_and_saveexec_b64 s[58:59], vcc
	s_cbranch_execz .LBB3_407
; %bb.406:                              ;   in Loop: Header=BB3_161 Depth=2
	s_bcnt1_i32_b64 s44, s[60:61]
	v_mov_b32_e32 v6, s44
	global_atomic_add v6, v29, v6, s[28:29] offset:512 glc
.LBB3_407:                              ;   in Loop: Header=BB3_161 Depth=2
	s_or_b64 exec, exec, s[58:59]
	s_waitcnt vmcnt(0)
	v_readfirstlane_b32 s44, v6
	v_add_u32_e32 v8, s44, v5
	v_cmp_lt_i32_e32 vcc, v8, v41
	s_mov_b64 s[60:61], 0
                                        ; implicit-def: $vgpr5
                                        ; implicit-def: $vgpr6
	s_and_saveexec_b64 s[58:59], vcc
	s_cbranch_execz .LBB3_421
; %bb.408:                              ;   in Loop: Header=BB3_161 Depth=2
	s_andn2_b64 vcc, exec, s[6:7]
	v_xad_u32 v6, v8, -1, s71
	s_cbranch_vccnz .LBB3_418
; %bb.409:                              ;   in Loop: Header=BB3_161 Depth=2
	v_ashrrev_i32_e32 v5, 31, v4
	v_lshlrev_b64 v[4:5], 2, v[4:5]
	v_mov_b32_e32 v8, s67
	v_add_co_u32_e32 v4, vcc, s66, v4
	v_addc_co_u32_e32 v5, vcc, v8, v5, vcc
	global_load_dword v5, v[4:5], off
	s_andn2_b64 vcc, exec, s[60:61]
	s_cbranch_vccz .LBB3_419
	s_branch .LBB3_420
.LBB3_410:                              ;   in Loop: Header=BB3_161 Depth=2
	s_andn2_saveexec_b64 s[54:55], s[54:55]
	s_cbranch_execz .LBB3_423
.LBB3_411:                              ;   in Loop: Header=BB3_161 Depth=2
	s_mov_b64 s[60:61], exec
	s_waitcnt vmcnt(0)
	v_mbcnt_lo_u32_b32 v5, s60, 0
	v_mbcnt_hi_u32_b32 v5, s61, v5
	v_cmp_eq_u32_e32 vcc, 0, v5
                                        ; implicit-def: $vgpr6
	s_and_saveexec_b64 s[58:59], vcc
	s_cbranch_execz .LBB3_413
; %bb.412:                              ;   in Loop: Header=BB3_161 Depth=2
	s_bcnt1_i32_b64 s44, s[60:61]
	v_mov_b32_e32 v6, s44
	global_atomic_add v6, v29, v6, s[28:29] offset:384 glc
.LBB3_413:                              ;   in Loop: Header=BB3_161 Depth=2
	s_or_b64 exec, exec, s[58:59]
	s_waitcnt vmcnt(0)
	v_readfirstlane_b32 s44, v6
	s_andn2_b64 vcc, exec, s[6:7]
	v_add_u32_e32 v6, s44, v5
	s_cbranch_vccnz .LBB3_415
; %bb.414:                              ;   in Loop: Header=BB3_161 Depth=2
	v_ashrrev_i32_e32 v5, 31, v4
	v_lshlrev_b64 v[4:5], 2, v[4:5]
	v_mov_b32_e32 v8, s67
	v_add_co_u32_e32 v4, vcc, s66, v4
	v_addc_co_u32_e32 v5, vcc, v8, v5, vcc
	global_load_dword v5, v[4:5], off
	s_cbranch_execz .LBB3_416
	s_branch .LBB3_417
.LBB3_415:                              ;   in Loop: Header=BB3_161 Depth=2
                                        ; implicit-def: $vgpr5
.LBB3_416:                              ;   in Loop: Header=BB3_161 Depth=2
	s_waitcnt vmcnt(0)
	v_add_u32_e32 v5, s25, v7
.LBB3_417:                              ;   in Loop: Header=BB3_161 Depth=2
	s_or_b64 s[56:57], s[56:57], exec
	s_or_b64 exec, exec, s[54:55]
	s_and_saveexec_b64 s[54:55], s[56:57]
	s_cbranch_execnz .LBB3_424
	s_branch .LBB3_425
.LBB3_418:                              ;   in Loop: Header=BB3_161 Depth=2
                                        ; implicit-def: $vgpr5
.LBB3_419:                              ;   in Loop: Header=BB3_161 Depth=2
	s_waitcnt vmcnt(0)
	v_add_u32_e32 v5, s25, v7
.LBB3_420:                              ;   in Loop: Header=BB3_161 Depth=2
	s_mov_b64 s[60:61], exec
.LBB3_421:                              ;   in Loop: Header=BB3_161 Depth=2
	s_or_b64 exec, exec, s[58:59]
	s_and_b64 s[58:59], s[60:61], exec
.LBB3_422:                              ;   in Loop: Header=BB3_161 Depth=2
	s_or_b64 exec, exec, s[56:57]
	s_and_b64 s[56:57], s[58:59], exec
                                        ; implicit-def: $vgpr7
                                        ; implicit-def: $vgpr4
	s_andn2_saveexec_b64 s[54:55], s[54:55]
	s_cbranch_execnz .LBB3_411
.LBB3_423:                              ;   in Loop: Header=BB3_161 Depth=2
	s_or_b64 exec, exec, s[54:55]
	s_and_saveexec_b64 s[54:55], s[56:57]
	s_cbranch_execz .LBB3_425
.LBB3_424:                              ;   in Loop: Header=BB3_161 Depth=2
	v_ashrrev_i32_e32 v7, 31, v6
	v_lshlrev_b64 v[6:7], 2, v[6:7]
	v_mov_b32_e32 v4, s62
	v_add_co_u32_e32 v6, vcc, s33, v6
	v_addc_co_u32_e32 v7, vcc, v4, v7, vcc
	s_waitcnt vmcnt(0)
	global_store_dword v[6:7], v5, off
.LBB3_425:                              ;   in Loop: Header=BB3_161 Depth=2
	s_or_b64 exec, exec, s[54:55]
	v_cmp_gt_i32_e32 vcc, 0, v0
	s_waitcnt vmcnt(0)
	v_cndmask_b32_e64 v5, v61, 0, vcc
	v_xor_b32_e32 v5, v5, v0
	v_lshl_add_u32 v4, v44, 2, s36
	v_cmp_ge_u32_e32 vcc, v5, v40
	s_mov_b64 s[56:57], 0
                                        ; implicit-def: $vgpr0
                                        ; implicit-def: $vgpr6
	s_and_saveexec_b64 s[54:55], vcc
	s_xor_b64 s[54:55], exec, s[54:55]
	s_cbranch_execz .LBB3_432
; %bb.426:                              ;   in Loop: Header=BB3_161 Depth=2
	v_cmp_eq_u32_e32 vcc, v5, v40
	s_mov_b64 s[58:59], 0
                                        ; implicit-def: $vgpr0
                                        ; implicit-def: $vgpr6
	s_and_saveexec_b64 s[56:57], vcc
	s_cbranch_execz .LBB3_444
; %bb.427:                              ;   in Loop: Header=BB3_161 Depth=2
	s_mov_b64 s[60:61], exec
	v_mbcnt_lo_u32_b32 v0, s60, 0
	v_mbcnt_hi_u32_b32 v0, s61, v0
	v_cmp_eq_u32_e32 vcc, 0, v0
                                        ; implicit-def: $vgpr5
	s_and_saveexec_b64 s[58:59], vcc
	s_cbranch_execz .LBB3_429
; %bb.428:                              ;   in Loop: Header=BB3_161 Depth=2
	s_bcnt1_i32_b64 s44, s[60:61]
	v_mov_b32_e32 v5, s44
	global_atomic_add v5, v29, v5, s[28:29] offset:512 glc
.LBB3_429:                              ;   in Loop: Header=BB3_161 Depth=2
	s_or_b64 exec, exec, s[58:59]
	s_waitcnt vmcnt(0)
	v_readfirstlane_b32 s44, v5
	v_add_u32_e32 v5, s44, v0
	v_cmp_lt_i32_e32 vcc, v5, v41
	s_mov_b64 s[60:61], 0
                                        ; implicit-def: $vgpr0
                                        ; implicit-def: $vgpr6
	s_and_saveexec_b64 s[58:59], vcc
	s_xor_b64 s[58:59], exec, s[58:59]
	s_cbranch_execz .LBB3_443
; %bb.430:                              ;   in Loop: Header=BB3_161 Depth=2
	s_andn2_b64 vcc, exec, s[6:7]
	v_xad_u32 v6, v5, -1, s71
	s_cbranch_vccnz .LBB3_440
; %bb.431:                              ;   in Loop: Header=BB3_161 Depth=2
	v_ashrrev_i32_e32 v5, 31, v4
	v_lshlrev_b64 v[8:9], 2, v[4:5]
	v_mov_b32_e32 v0, s27
	v_add_co_u32_e32 v8, vcc, s26, v8
	v_addc_co_u32_e32 v9, vcc, v0, v9, vcc
	global_load_dword v0, v[8:9], off
	s_andn2_b64 vcc, exec, s[60:61]
	s_cbranch_vccz .LBB3_441
	s_branch .LBB3_442
.LBB3_432:                              ;   in Loop: Header=BB3_161 Depth=2
	s_andn2_saveexec_b64 s[54:55], s[54:55]
	s_cbranch_execz .LBB3_445
.LBB3_433:                              ;   in Loop: Header=BB3_161 Depth=2
	s_mov_b64 s[60:61], exec
	s_waitcnt vmcnt(0)
	v_mbcnt_lo_u32_b32 v0, s60, 0
	v_mbcnt_hi_u32_b32 v0, s61, v0
	v_cmp_eq_u32_e32 vcc, 0, v0
                                        ; implicit-def: $vgpr5
	s_and_saveexec_b64 s[58:59], vcc
	s_cbranch_execz .LBB3_435
; %bb.434:                              ;   in Loop: Header=BB3_161 Depth=2
	s_bcnt1_i32_b64 s44, s[60:61]
	v_mov_b32_e32 v5, s44
	global_atomic_add v5, v29, v5, s[28:29] offset:384 glc
.LBB3_435:                              ;   in Loop: Header=BB3_161 Depth=2
	s_or_b64 exec, exec, s[58:59]
	s_waitcnt vmcnt(0)
	v_readfirstlane_b32 s44, v5
	s_andn2_b64 vcc, exec, s[6:7]
	v_add_u32_e32 v6, s44, v0
	s_cbranch_vccnz .LBB3_437
; %bb.436:                              ;   in Loop: Header=BB3_161 Depth=2
	v_ashrrev_i32_e32 v5, 31, v4
	v_lshlrev_b64 v[8:9], 2, v[4:5]
	v_mov_b32_e32 v0, s27
	v_add_co_u32_e32 v8, vcc, s26, v8
	v_addc_co_u32_e32 v9, vcc, v0, v9, vcc
	global_load_dword v0, v[8:9], off
	s_cbranch_execz .LBB3_438
	s_branch .LBB3_439
.LBB3_437:                              ;   in Loop: Header=BB3_161 Depth=2
                                        ; implicit-def: $vgpr0
.LBB3_438:                              ;   in Loop: Header=BB3_161 Depth=2
	s_waitcnt vmcnt(0)
	v_add_u32_e32 v0, s25, v4
.LBB3_439:                              ;   in Loop: Header=BB3_161 Depth=2
	s_or_b64 s[56:57], s[56:57], exec
	s_or_b64 exec, exec, s[54:55]
	s_and_saveexec_b64 s[54:55], s[56:57]
	s_cbranch_execnz .LBB3_446
	s_branch .LBB3_447
.LBB3_440:                              ;   in Loop: Header=BB3_161 Depth=2
                                        ; implicit-def: $vgpr0
.LBB3_441:                              ;   in Loop: Header=BB3_161 Depth=2
	s_waitcnt vmcnt(0)
	v_add_u32_e32 v0, s25, v4
.LBB3_442:                              ;   in Loop: Header=BB3_161 Depth=2
	s_mov_b64 s[60:61], exec
.LBB3_443:                              ;   in Loop: Header=BB3_161 Depth=2
	s_or_b64 exec, exec, s[58:59]
	s_and_b64 s[58:59], s[60:61], exec
.LBB3_444:                              ;   in Loop: Header=BB3_161 Depth=2
	s_or_b64 exec, exec, s[56:57]
	s_and_b64 s[56:57], s[58:59], exec
	s_andn2_saveexec_b64 s[54:55], s[54:55]
	s_cbranch_execnz .LBB3_433
.LBB3_445:                              ;   in Loop: Header=BB3_161 Depth=2
	s_or_b64 exec, exec, s[54:55]
	s_and_saveexec_b64 s[54:55], s[56:57]
	s_cbranch_execz .LBB3_447
.LBB3_446:                              ;   in Loop: Header=BB3_161 Depth=2
	v_ashrrev_i32_e32 v7, 31, v6
	v_lshlrev_b64 v[6:7], 2, v[6:7]
	v_mov_b32_e32 v5, s62
	v_add_co_u32_e32 v6, vcc, s33, v6
	v_addc_co_u32_e32 v7, vcc, v5, v7, vcc
	s_waitcnt vmcnt(0)
	global_store_dword v[6:7], v0, off
.LBB3_447:                              ;   in Loop: Header=BB3_161 Depth=2
	s_or_b64 exec, exec, s[54:55]
	v_cmp_gt_i32_e32 vcc, 0, v1
	s_waitcnt vmcnt(0)
	v_cndmask_b32_e64 v0, v61, 0, vcc
	v_xor_b32_e32 v1, v0, v1
	v_add_u32_e32 v6, 1, v4
	v_cmp_ge_u32_e32 vcc, v1, v40
	s_mov_b64 s[56:57], 0
                                        ; implicit-def: $vgpr5
                                        ; implicit-def: $vgpr0
	s_and_saveexec_b64 s[54:55], vcc
	s_xor_b64 s[54:55], exec, s[54:55]
	s_cbranch_execz .LBB3_454
; %bb.448:                              ;   in Loop: Header=BB3_161 Depth=2
	v_cmp_eq_u32_e32 vcc, v1, v40
	s_mov_b64 s[58:59], 0
                                        ; implicit-def: $vgpr5
                                        ; implicit-def: $vgpr0
	s_and_saveexec_b64 s[56:57], vcc
	s_cbranch_execz .LBB3_466
; %bb.449:                              ;   in Loop: Header=BB3_161 Depth=2
	s_mov_b64 s[60:61], exec
	v_mbcnt_lo_u32_b32 v0, s60, 0
	v_mbcnt_hi_u32_b32 v0, s61, v0
	v_cmp_eq_u32_e32 vcc, 0, v0
                                        ; implicit-def: $vgpr1
	s_and_saveexec_b64 s[58:59], vcc
	s_cbranch_execz .LBB3_451
; %bb.450:                              ;   in Loop: Header=BB3_161 Depth=2
	s_bcnt1_i32_b64 s44, s[60:61]
	v_mov_b32_e32 v1, s44
	global_atomic_add v1, v29, v1, s[28:29] offset:512 glc
.LBB3_451:                              ;   in Loop: Header=BB3_161 Depth=2
	s_or_b64 exec, exec, s[58:59]
	s_waitcnt vmcnt(0)
	v_readfirstlane_b32 s44, v1
	v_add_u32_e32 v1, s44, v0
	v_cmp_lt_i32_e32 vcc, v1, v41
	s_mov_b64 s[60:61], 0
                                        ; implicit-def: $vgpr5
                                        ; implicit-def: $vgpr0
	s_and_saveexec_b64 s[58:59], vcc
	s_cbranch_execz .LBB3_465
; %bb.452:                              ;   in Loop: Header=BB3_161 Depth=2
	s_andn2_b64 vcc, exec, s[6:7]
	v_xad_u32 v0, v1, -1, s71
	s_cbranch_vccnz .LBB3_462
; %bb.453:                              ;   in Loop: Header=BB3_161 Depth=2
	v_ashrrev_i32_e32 v5, 31, v4
	v_lshlrev_b64 v[8:9], 2, v[4:5]
	v_mov_b32_e32 v1, s37
	v_add_co_u32_e32 v8, vcc, s31, v8
	v_addc_co_u32_e32 v9, vcc, v1, v9, vcc
	global_load_dword v5, v[8:9], off
	s_andn2_b64 vcc, exec, s[60:61]
	s_cbranch_vccz .LBB3_463
	s_branch .LBB3_464
.LBB3_454:                              ;   in Loop: Header=BB3_161 Depth=2
	s_andn2_saveexec_b64 s[54:55], s[54:55]
	s_cbranch_execz .LBB3_467
.LBB3_455:                              ;   in Loop: Header=BB3_161 Depth=2
	s_mov_b64 s[60:61], exec
	v_mbcnt_lo_u32_b32 v0, s60, 0
	v_mbcnt_hi_u32_b32 v0, s61, v0
	v_cmp_eq_u32_e32 vcc, 0, v0
                                        ; implicit-def: $vgpr1
	s_and_saveexec_b64 s[58:59], vcc
	s_cbranch_execz .LBB3_457
; %bb.456:                              ;   in Loop: Header=BB3_161 Depth=2
	s_bcnt1_i32_b64 s44, s[60:61]
	v_mov_b32_e32 v1, s44
	global_atomic_add v1, v29, v1, s[28:29] offset:384 glc
.LBB3_457:                              ;   in Loop: Header=BB3_161 Depth=2
	s_or_b64 exec, exec, s[58:59]
	s_waitcnt vmcnt(0)
	v_readfirstlane_b32 s44, v1
	s_andn2_b64 vcc, exec, s[6:7]
	v_add_u32_e32 v0, s44, v0
	s_cbranch_vccnz .LBB3_459
; %bb.458:                              ;   in Loop: Header=BB3_161 Depth=2
	v_ashrrev_i32_e32 v5, 31, v4
	v_lshlrev_b64 v[8:9], 2, v[4:5]
	v_mov_b32_e32 v1, s37
	v_add_co_u32_e32 v8, vcc, s31, v8
	v_addc_co_u32_e32 v9, vcc, v1, v9, vcc
	global_load_dword v5, v[8:9], off
	s_cbranch_execz .LBB3_460
	s_branch .LBB3_461
.LBB3_459:                              ;   in Loop: Header=BB3_161 Depth=2
                                        ; implicit-def: $vgpr5
.LBB3_460:                              ;   in Loop: Header=BB3_161 Depth=2
	s_waitcnt vmcnt(0)
	v_add_u32_e32 v5, s25, v6
.LBB3_461:                              ;   in Loop: Header=BB3_161 Depth=2
	s_or_b64 s[56:57], s[56:57], exec
	s_or_b64 exec, exec, s[54:55]
	s_and_saveexec_b64 s[54:55], s[56:57]
	s_cbranch_execnz .LBB3_468
	s_branch .LBB3_469
.LBB3_462:                              ;   in Loop: Header=BB3_161 Depth=2
                                        ; implicit-def: $vgpr5
.LBB3_463:                              ;   in Loop: Header=BB3_161 Depth=2
	s_waitcnt vmcnt(0)
	v_add_u32_e32 v5, s25, v6
.LBB3_464:                              ;   in Loop: Header=BB3_161 Depth=2
	s_mov_b64 s[60:61], exec
.LBB3_465:                              ;   in Loop: Header=BB3_161 Depth=2
	s_or_b64 exec, exec, s[58:59]
	s_and_b64 s[58:59], s[60:61], exec
.LBB3_466:                              ;   in Loop: Header=BB3_161 Depth=2
	s_or_b64 exec, exec, s[56:57]
	s_and_b64 s[56:57], s[58:59], exec
                                        ; implicit-def: $vgpr6
	s_andn2_saveexec_b64 s[54:55], s[54:55]
	s_cbranch_execnz .LBB3_455
.LBB3_467:                              ;   in Loop: Header=BB3_161 Depth=2
	s_or_b64 exec, exec, s[54:55]
	s_and_saveexec_b64 s[54:55], s[56:57]
	s_cbranch_execz .LBB3_469
.LBB3_468:                              ;   in Loop: Header=BB3_161 Depth=2
	v_ashrrev_i32_e32 v1, 31, v0
	v_lshlrev_b64 v[0:1], 2, v[0:1]
	v_mov_b32_e32 v6, s62
	v_add_co_u32_e32 v0, vcc, s33, v0
	v_addc_co_u32_e32 v1, vcc, v6, v1, vcc
	s_waitcnt vmcnt(0)
	global_store_dword v[0:1], v5, off
.LBB3_469:                              ;   in Loop: Header=BB3_161 Depth=2
	s_or_b64 exec, exec, s[54:55]
	v_cmp_gt_i32_e32 vcc, 0, v2
	v_cndmask_b32_e64 v0, v61, 0, vcc
	s_waitcnt vmcnt(0)
	v_xor_b32_e32 v5, v0, v2
	v_add_u32_e32 v1, 2, v4
	v_cmp_ge_u32_e32 vcc, v5, v40
	s_mov_b64 s[56:57], 0
                                        ; implicit-def: $vgpr2
                                        ; implicit-def: $vgpr0
	s_and_saveexec_b64 s[54:55], vcc
	s_xor_b64 s[54:55], exec, s[54:55]
	s_cbranch_execz .LBB3_476
; %bb.470:                              ;   in Loop: Header=BB3_161 Depth=2
	v_cmp_eq_u32_e32 vcc, v5, v40
	s_mov_b64 s[58:59], 0
                                        ; implicit-def: $vgpr2
                                        ; implicit-def: $vgpr0
	s_and_saveexec_b64 s[56:57], vcc
	s_cbranch_execz .LBB3_488
; %bb.471:                              ;   in Loop: Header=BB3_161 Depth=2
	s_mov_b64 s[60:61], exec
	v_mbcnt_lo_u32_b32 v0, s60, 0
	v_mbcnt_hi_u32_b32 v0, s61, v0
	v_cmp_eq_u32_e32 vcc, 0, v0
                                        ; implicit-def: $vgpr2
	s_and_saveexec_b64 s[58:59], vcc
	s_cbranch_execz .LBB3_473
; %bb.472:                              ;   in Loop: Header=BB3_161 Depth=2
	s_bcnt1_i32_b64 s44, s[60:61]
	v_mov_b32_e32 v2, s44
	global_atomic_add v2, v29, v2, s[28:29] offset:512 glc
.LBB3_473:                              ;   in Loop: Header=BB3_161 Depth=2
	s_or_b64 exec, exec, s[58:59]
	s_waitcnt vmcnt(0)
	v_readfirstlane_b32 s44, v2
	v_add_u32_e32 v5, s44, v0
	v_cmp_lt_i32_e32 vcc, v5, v41
	s_mov_b64 s[60:61], 0
                                        ; implicit-def: $vgpr2
                                        ; implicit-def: $vgpr0
	s_and_saveexec_b64 s[58:59], vcc
	s_cbranch_execz .LBB3_487
; %bb.474:                              ;   in Loop: Header=BB3_161 Depth=2
	s_andn2_b64 vcc, exec, s[6:7]
	v_xad_u32 v0, v5, -1, s71
	s_cbranch_vccnz .LBB3_484
; %bb.475:                              ;   in Loop: Header=BB3_161 Depth=2
	v_ashrrev_i32_e32 v5, 31, v4
	v_lshlrev_b64 v[6:7], 2, v[4:5]
	v_mov_b32_e32 v2, s65
	v_add_co_u32_e32 v6, vcc, s64, v6
	v_addc_co_u32_e32 v7, vcc, v2, v7, vcc
	global_load_dword v2, v[6:7], off
	s_andn2_b64 vcc, exec, s[60:61]
	s_cbranch_vccz .LBB3_485
	s_branch .LBB3_486
.LBB3_476:                              ;   in Loop: Header=BB3_161 Depth=2
	s_andn2_saveexec_b64 s[54:55], s[54:55]
	s_cbranch_execz .LBB3_489
.LBB3_477:                              ;   in Loop: Header=BB3_161 Depth=2
	s_mov_b64 s[60:61], exec
	v_mbcnt_lo_u32_b32 v0, s60, 0
	v_mbcnt_hi_u32_b32 v0, s61, v0
	v_cmp_eq_u32_e32 vcc, 0, v0
                                        ; implicit-def: $vgpr2
	s_and_saveexec_b64 s[58:59], vcc
	s_cbranch_execz .LBB3_479
; %bb.478:                              ;   in Loop: Header=BB3_161 Depth=2
	s_bcnt1_i32_b64 s44, s[60:61]
	s_waitcnt vmcnt(0)
	v_mov_b32_e32 v2, s44
	global_atomic_add v2, v29, v2, s[28:29] offset:384 glc
.LBB3_479:                              ;   in Loop: Header=BB3_161 Depth=2
	s_or_b64 exec, exec, s[58:59]
	s_waitcnt vmcnt(0)
	v_readfirstlane_b32 s44, v2
	s_andn2_b64 vcc, exec, s[6:7]
	v_add_u32_e32 v0, s44, v0
	s_cbranch_vccnz .LBB3_481
; %bb.480:                              ;   in Loop: Header=BB3_161 Depth=2
	v_ashrrev_i32_e32 v5, 31, v4
	v_lshlrev_b64 v[6:7], 2, v[4:5]
	v_mov_b32_e32 v2, s65
	v_add_co_u32_e32 v6, vcc, s64, v6
	v_addc_co_u32_e32 v7, vcc, v2, v7, vcc
	global_load_dword v2, v[6:7], off
	s_cbranch_execz .LBB3_482
	s_branch .LBB3_483
.LBB3_481:                              ;   in Loop: Header=BB3_161 Depth=2
                                        ; implicit-def: $vgpr2
.LBB3_482:                              ;   in Loop: Header=BB3_161 Depth=2
	s_waitcnt vmcnt(0)
	v_add_u32_e32 v2, s25, v1
.LBB3_483:                              ;   in Loop: Header=BB3_161 Depth=2
	s_or_b64 s[56:57], s[56:57], exec
	s_or_b64 exec, exec, s[54:55]
	s_and_saveexec_b64 s[54:55], s[56:57]
	s_cbranch_execnz .LBB3_490
	s_branch .LBB3_491
.LBB3_484:                              ;   in Loop: Header=BB3_161 Depth=2
                                        ; implicit-def: $vgpr2
.LBB3_485:                              ;   in Loop: Header=BB3_161 Depth=2
	s_waitcnt vmcnt(0)
	v_add_u32_e32 v2, s25, v1
.LBB3_486:                              ;   in Loop: Header=BB3_161 Depth=2
	s_mov_b64 s[60:61], exec
.LBB3_487:                              ;   in Loop: Header=BB3_161 Depth=2
	s_or_b64 exec, exec, s[58:59]
	s_and_b64 s[58:59], s[60:61], exec
.LBB3_488:                              ;   in Loop: Header=BB3_161 Depth=2
	s_or_b64 exec, exec, s[56:57]
	s_and_b64 s[56:57], s[58:59], exec
                                        ; implicit-def: $vgpr1
	s_andn2_saveexec_b64 s[54:55], s[54:55]
	s_cbranch_execnz .LBB3_477
.LBB3_489:                              ;   in Loop: Header=BB3_161 Depth=2
	s_or_b64 exec, exec, s[54:55]
	s_and_saveexec_b64 s[54:55], s[56:57]
	s_cbranch_execz .LBB3_491
.LBB3_490:                              ;   in Loop: Header=BB3_161 Depth=2
	v_ashrrev_i32_e32 v1, 31, v0
	v_lshlrev_b64 v[0:1], 2, v[0:1]
	v_mov_b32_e32 v5, s62
	v_add_co_u32_e32 v0, vcc, s33, v0
	v_addc_co_u32_e32 v1, vcc, v5, v1, vcc
	s_waitcnt vmcnt(0)
	global_store_dword v[0:1], v2, off
.LBB3_491:                              ;   in Loop: Header=BB3_161 Depth=2
	s_or_b64 exec, exec, s[54:55]
	v_cmp_gt_i32_e32 vcc, 0, v3
	v_cndmask_b32_e64 v0, v61, 0, vcc
	v_xor_b32_e32 v3, v0, v3
	v_add_u32_e32 v1, 3, v4
	v_cmp_ge_u32_e32 vcc, v3, v40
	s_mov_b64 s[56:57], 0
                                        ; implicit-def: $vgpr2
                                        ; implicit-def: $vgpr0
	s_and_saveexec_b64 s[54:55], vcc
	s_xor_b64 s[54:55], exec, s[54:55]
	s_cbranch_execz .LBB3_498
; %bb.492:                              ;   in Loop: Header=BB3_161 Depth=2
	v_cmp_eq_u32_e32 vcc, v3, v40
	s_mov_b64 s[58:59], 0
                                        ; implicit-def: $vgpr2
                                        ; implicit-def: $vgpr0
	s_and_saveexec_b64 s[56:57], vcc
	s_cbranch_execz .LBB3_510
; %bb.493:                              ;   in Loop: Header=BB3_161 Depth=2
	s_mov_b64 s[60:61], exec
	v_mbcnt_lo_u32_b32 v0, s60, 0
	v_mbcnt_hi_u32_b32 v0, s61, v0
	v_cmp_eq_u32_e32 vcc, 0, v0
                                        ; implicit-def: $vgpr2
	s_and_saveexec_b64 s[58:59], vcc
	s_cbranch_execz .LBB3_495
; %bb.494:                              ;   in Loop: Header=BB3_161 Depth=2
	s_bcnt1_i32_b64 s44, s[60:61]
	s_waitcnt vmcnt(0)
	v_mov_b32_e32 v2, s44
	global_atomic_add v2, v29, v2, s[28:29] offset:512 glc
.LBB3_495:                              ;   in Loop: Header=BB3_161 Depth=2
	s_or_b64 exec, exec, s[58:59]
	s_waitcnt vmcnt(0)
	v_readfirstlane_b32 s44, v2
	v_add_u32_e32 v3, s44, v0
	v_cmp_lt_i32_e32 vcc, v3, v41
	s_mov_b64 s[60:61], 0
                                        ; implicit-def: $vgpr2
                                        ; implicit-def: $vgpr0
	s_and_saveexec_b64 s[58:59], vcc
	s_cbranch_execz .LBB3_509
; %bb.496:                              ;   in Loop: Header=BB3_161 Depth=2
	s_andn2_b64 vcc, exec, s[6:7]
	v_xad_u32 v0, v3, -1, s71
	s_cbranch_vccnz .LBB3_506
; %bb.497:                              ;   in Loop: Header=BB3_161 Depth=2
	v_ashrrev_i32_e32 v5, 31, v4
	v_lshlrev_b64 v[2:3], 2, v[4:5]
	v_mov_b32_e32 v4, s67
	v_add_co_u32_e32 v2, vcc, s66, v2
	v_addc_co_u32_e32 v3, vcc, v4, v3, vcc
	global_load_dword v2, v[2:3], off
	s_andn2_b64 vcc, exec, s[60:61]
	s_cbranch_vccz .LBB3_507
	s_branch .LBB3_508
.LBB3_498:                              ;   in Loop: Header=BB3_161 Depth=2
	s_andn2_saveexec_b64 s[54:55], s[54:55]
	s_cbranch_execz .LBB3_511
.LBB3_499:                              ;   in Loop: Header=BB3_161 Depth=2
	s_mov_b64 s[60:61], exec
	v_mbcnt_lo_u32_b32 v0, s60, 0
	v_mbcnt_hi_u32_b32 v0, s61, v0
	v_cmp_eq_u32_e32 vcc, 0, v0
                                        ; implicit-def: $vgpr2
	s_and_saveexec_b64 s[58:59], vcc
	s_cbranch_execz .LBB3_501
; %bb.500:                              ;   in Loop: Header=BB3_161 Depth=2
	s_bcnt1_i32_b64 s44, s[60:61]
	s_waitcnt vmcnt(0)
	v_mov_b32_e32 v2, s44
	global_atomic_add v2, v29, v2, s[28:29] offset:384 glc
.LBB3_501:                              ;   in Loop: Header=BB3_161 Depth=2
	s_or_b64 exec, exec, s[58:59]
	s_waitcnt vmcnt(0)
	v_readfirstlane_b32 s44, v2
	s_andn2_b64 vcc, exec, s[6:7]
	v_add_u32_e32 v0, s44, v0
	s_cbranch_vccnz .LBB3_503
; %bb.502:                              ;   in Loop: Header=BB3_161 Depth=2
	v_ashrrev_i32_e32 v5, 31, v4
	v_lshlrev_b64 v[2:3], 2, v[4:5]
	v_mov_b32_e32 v4, s67
	v_add_co_u32_e32 v2, vcc, s66, v2
	v_addc_co_u32_e32 v3, vcc, v4, v3, vcc
	global_load_dword v2, v[2:3], off
	s_cbranch_execz .LBB3_504
	s_branch .LBB3_505
.LBB3_503:                              ;   in Loop: Header=BB3_161 Depth=2
                                        ; implicit-def: $vgpr2
.LBB3_504:                              ;   in Loop: Header=BB3_161 Depth=2
	s_waitcnt vmcnt(0)
	v_add_u32_e32 v2, s25, v1
.LBB3_505:                              ;   in Loop: Header=BB3_161 Depth=2
	s_or_b64 s[56:57], s[56:57], exec
	s_or_b64 exec, exec, s[54:55]
	s_and_saveexec_b64 s[54:55], s[56:57]
	s_cbranch_execz .LBB3_160
	s_branch .LBB3_512
.LBB3_506:                              ;   in Loop: Header=BB3_161 Depth=2
                                        ; implicit-def: $vgpr2
.LBB3_507:                              ;   in Loop: Header=BB3_161 Depth=2
	s_waitcnt vmcnt(0)
	v_add_u32_e32 v2, s25, v1
.LBB3_508:                              ;   in Loop: Header=BB3_161 Depth=2
	s_mov_b64 s[60:61], exec
.LBB3_509:                              ;   in Loop: Header=BB3_161 Depth=2
	s_or_b64 exec, exec, s[58:59]
	s_and_b64 s[58:59], s[60:61], exec
.LBB3_510:                              ;   in Loop: Header=BB3_161 Depth=2
	s_or_b64 exec, exec, s[56:57]
	s_and_b64 s[56:57], s[58:59], exec
                                        ; implicit-def: $vgpr1
                                        ; implicit-def: $vgpr4
	s_andn2_saveexec_b64 s[54:55], s[54:55]
	s_cbranch_execnz .LBB3_499
.LBB3_511:                              ;   in Loop: Header=BB3_161 Depth=2
	s_or_b64 exec, exec, s[54:55]
	s_and_saveexec_b64 s[54:55], s[56:57]
	s_cbranch_execz .LBB3_160
.LBB3_512:                              ;   in Loop: Header=BB3_161 Depth=2
	v_ashrrev_i32_e32 v1, 31, v0
	v_lshlrev_b64 v[0:1], 2, v[0:1]
	v_mov_b32_e32 v3, s62
	v_add_co_u32_e32 v0, vcc, s33, v0
	v_addc_co_u32_e32 v1, vcc, v3, v1, vcc
	s_waitcnt vmcnt(0)
	global_store_dword v[0:1], v2, off
	s_branch .LBB3_160
.LBB3_513:                              ;   in Loop: Header=BB3_20 Depth=1
	s_or_b64 exec, exec, s[52:53]
.LBB3_514:                              ;   in Loop: Header=BB3_20 Depth=1
	s_or_b64 exec, exec, s[4:5]
	v_cmp_gt_i32_e32 vcc, s34, v42
	s_and_saveexec_b64 s[4:5], vcc
	s_cbranch_execz .LBB3_605
; %bb.515:                              ;   in Loop: Header=BB3_20 Depth=1
	v_lshl_add_u32 v4, v42, 2, s36
	s_mov_b64 s[52:53], 0
	s_branch .LBB3_517
.LBB3_516:                              ;   in Loop: Header=BB3_517 Depth=2
	s_or_b64 exec, exec, s[54:55]
	v_add_u32_e32 v42, s30, v42
	v_cmp_le_i32_e32 vcc, s34, v42
	s_or_b64 s[52:53], vcc, s[52:53]
	v_add_u32_e32 v4, s63, v4
	s_andn2_b64 exec, exec, s[52:53]
	s_cbranch_execz .LBB3_605
.LBB3_517:                              ;   Parent Loop BB3_20 Depth=1
                                        ; =>  This Inner Loop Header: Depth=2
	v_ashrrev_i32_e32 v43, 31, v42
	v_lshlrev_b64 v[0:1], 4, v[42:43]
	s_waitcnt vmcnt(0)
	v_mov_b32_e32 v2, s68
	v_add_co_u32_e32 v0, vcc, s24, v0
	v_addc_co_u32_e32 v1, vcc, v2, v1, vcc
	global_load_dwordx4 v[0:3], v[0:1], off
	v_lshl_add_u32 v8, v42, 2, s36
	s_mov_b64 s[56:57], 0
                                        ; implicit-def: $vgpr6
	s_waitcnt vmcnt(0)
	v_cmp_gt_i32_e32 vcc, 0, v0
	v_cndmask_b32_e64 v5, v61, 0, vcc
	v_xor_b32_e32 v5, v5, v0
	s_waitcnt lgkmcnt(0)
	v_cmp_ge_u32_e32 vcc, v5, v40
                                        ; implicit-def: $vgpr0
	s_and_saveexec_b64 s[54:55], vcc
	s_xor_b64 s[54:55], exec, s[54:55]
	s_cbranch_execz .LBB3_524
; %bb.518:                              ;   in Loop: Header=BB3_517 Depth=2
	v_cmp_eq_u32_e32 vcc, v5, v40
	s_mov_b64 s[58:59], 0
                                        ; implicit-def: $vgpr0
                                        ; implicit-def: $vgpr6
	s_and_saveexec_b64 s[56:57], vcc
	s_cbranch_execz .LBB3_536
; %bb.519:                              ;   in Loop: Header=BB3_517 Depth=2
	s_mov_b64 s[60:61], exec
	v_mbcnt_lo_u32_b32 v0, s60, 0
	v_mbcnt_hi_u32_b32 v0, s61, v0
	v_cmp_eq_u32_e32 vcc, 0, v0
                                        ; implicit-def: $vgpr5
	s_and_saveexec_b64 s[58:59], vcc
	s_cbranch_execz .LBB3_521
; %bb.520:                              ;   in Loop: Header=BB3_517 Depth=2
	s_bcnt1_i32_b64 s44, s[60:61]
	v_mov_b32_e32 v5, s44
	global_atomic_add v5, v29, v5, s[28:29] offset:512 glc
.LBB3_521:                              ;   in Loop: Header=BB3_517 Depth=2
	s_or_b64 exec, exec, s[58:59]
	s_waitcnt vmcnt(0)
	v_readfirstlane_b32 s44, v5
	v_add_u32_e32 v5, s44, v0
	v_cmp_lt_i32_e32 vcc, v5, v41
	s_mov_b64 s[60:61], 0
                                        ; implicit-def: $vgpr0
                                        ; implicit-def: $vgpr6
	s_and_saveexec_b64 s[58:59], vcc
	s_xor_b64 s[58:59], exec, s[58:59]
	s_cbranch_execz .LBB3_535
; %bb.522:                              ;   in Loop: Header=BB3_517 Depth=2
	s_andn2_b64 vcc, exec, s[6:7]
	v_xad_u32 v6, v5, -1, s71
	s_cbranch_vccnz .LBB3_532
; %bb.523:                              ;   in Loop: Header=BB3_517 Depth=2
	v_ashrrev_i32_e32 v5, 31, v4
	v_lshlrev_b64 v[10:11], 2, v[4:5]
	v_mov_b32_e32 v0, s27
	v_add_co_u32_e32 v10, vcc, s26, v10
	v_addc_co_u32_e32 v11, vcc, v0, v11, vcc
	global_load_dword v0, v[10:11], off
	s_andn2_b64 vcc, exec, s[60:61]
	s_cbranch_vccz .LBB3_533
	s_branch .LBB3_534
.LBB3_524:                              ;   in Loop: Header=BB3_517 Depth=2
	s_andn2_saveexec_b64 s[54:55], s[54:55]
	s_cbranch_execz .LBB3_537
.LBB3_525:                              ;   in Loop: Header=BB3_517 Depth=2
	s_mov_b64 s[60:61], exec
	s_waitcnt vmcnt(0)
	v_mbcnt_lo_u32_b32 v0, s60, 0
	v_mbcnt_hi_u32_b32 v0, s61, v0
	v_cmp_eq_u32_e32 vcc, 0, v0
                                        ; implicit-def: $vgpr5
	s_and_saveexec_b64 s[58:59], vcc
	s_cbranch_execz .LBB3_527
; %bb.526:                              ;   in Loop: Header=BB3_517 Depth=2
	s_bcnt1_i32_b64 s44, s[60:61]
	v_mov_b32_e32 v5, s44
	global_atomic_add v5, v29, v5, s[28:29] offset:384 glc
.LBB3_527:                              ;   in Loop: Header=BB3_517 Depth=2
	s_or_b64 exec, exec, s[58:59]
	s_waitcnt vmcnt(0)
	v_readfirstlane_b32 s44, v5
	s_andn2_b64 vcc, exec, s[6:7]
	v_add_u32_e32 v6, s44, v0
	s_cbranch_vccnz .LBB3_529
; %bb.528:                              ;   in Loop: Header=BB3_517 Depth=2
	v_ashrrev_i32_e32 v5, 31, v4
	v_lshlrev_b64 v[10:11], 2, v[4:5]
	v_mov_b32_e32 v0, s27
	v_add_co_u32_e32 v10, vcc, s26, v10
	v_addc_co_u32_e32 v11, vcc, v0, v11, vcc
	global_load_dword v0, v[10:11], off
	s_cbranch_execz .LBB3_530
	s_branch .LBB3_531
.LBB3_529:                              ;   in Loop: Header=BB3_517 Depth=2
                                        ; implicit-def: $vgpr0
.LBB3_530:                              ;   in Loop: Header=BB3_517 Depth=2
	s_waitcnt vmcnt(0)
	v_add_u32_e32 v0, s25, v4
.LBB3_531:                              ;   in Loop: Header=BB3_517 Depth=2
	s_or_b64 s[56:57], s[56:57], exec
	s_or_b64 exec, exec, s[54:55]
	s_and_saveexec_b64 s[54:55], s[56:57]
	s_cbranch_execnz .LBB3_538
	s_branch .LBB3_539
.LBB3_532:                              ;   in Loop: Header=BB3_517 Depth=2
                                        ; implicit-def: $vgpr0
.LBB3_533:                              ;   in Loop: Header=BB3_517 Depth=2
	s_waitcnt vmcnt(0)
	v_add_u32_e32 v0, s25, v8
.LBB3_534:                              ;   in Loop: Header=BB3_517 Depth=2
	s_mov_b64 s[60:61], exec
.LBB3_535:                              ;   in Loop: Header=BB3_517 Depth=2
	s_or_b64 exec, exec, s[58:59]
	s_and_b64 s[58:59], s[60:61], exec
.LBB3_536:                              ;   in Loop: Header=BB3_517 Depth=2
	s_or_b64 exec, exec, s[56:57]
	s_and_b64 s[56:57], s[58:59], exec
	s_andn2_saveexec_b64 s[54:55], s[54:55]
	s_cbranch_execnz .LBB3_525
.LBB3_537:                              ;   in Loop: Header=BB3_517 Depth=2
	s_or_b64 exec, exec, s[54:55]
	s_and_saveexec_b64 s[54:55], s[56:57]
	s_cbranch_execz .LBB3_539
.LBB3_538:                              ;   in Loop: Header=BB3_517 Depth=2
	v_ashrrev_i32_e32 v7, 31, v6
	v_lshlrev_b64 v[6:7], 2, v[6:7]
	v_mov_b32_e32 v5, s62
	v_add_co_u32_e32 v6, vcc, s33, v6
	v_addc_co_u32_e32 v7, vcc, v5, v7, vcc
	s_waitcnt vmcnt(0)
	global_store_dword v[6:7], v0, off
.LBB3_539:                              ;   in Loop: Header=BB3_517 Depth=2
	s_or_b64 exec, exec, s[54:55]
	v_cmp_gt_i32_e32 vcc, 0, v1
	s_waitcnt vmcnt(0)
	v_cndmask_b32_e64 v0, v61, 0, vcc
	v_xor_b32_e32 v1, v0, v1
	v_cmp_ge_u32_e32 vcc, v1, v40
	s_mov_b64 s[56:57], 0
                                        ; implicit-def: $vgpr5
                                        ; implicit-def: $vgpr0
	s_and_saveexec_b64 s[54:55], vcc
	s_xor_b64 s[54:55], exec, s[54:55]
	s_cbranch_execz .LBB3_546
; %bb.540:                              ;   in Loop: Header=BB3_517 Depth=2
	v_cmp_eq_u32_e32 vcc, v1, v40
	s_mov_b64 s[58:59], 0
                                        ; implicit-def: $vgpr5
                                        ; implicit-def: $vgpr0
	s_and_saveexec_b64 s[56:57], vcc
	s_cbranch_execz .LBB3_558
; %bb.541:                              ;   in Loop: Header=BB3_517 Depth=2
	s_mov_b64 s[60:61], exec
	v_mbcnt_lo_u32_b32 v0, s60, 0
	v_mbcnt_hi_u32_b32 v0, s61, v0
	v_cmp_eq_u32_e32 vcc, 0, v0
                                        ; implicit-def: $vgpr1
	s_and_saveexec_b64 s[58:59], vcc
	s_cbranch_execz .LBB3_543
; %bb.542:                              ;   in Loop: Header=BB3_517 Depth=2
	s_bcnt1_i32_b64 s44, s[60:61]
	v_mov_b32_e32 v1, s44
	global_atomic_add v1, v29, v1, s[28:29] offset:512 glc
.LBB3_543:                              ;   in Loop: Header=BB3_517 Depth=2
	s_or_b64 exec, exec, s[58:59]
	s_waitcnt vmcnt(0)
	v_readfirstlane_b32 s44, v1
	v_add_u32_e32 v1, s44, v0
	v_cmp_lt_i32_e32 vcc, v1, v41
	s_mov_b64 s[60:61], 0
                                        ; implicit-def: $vgpr5
                                        ; implicit-def: $vgpr0
	s_and_saveexec_b64 s[58:59], vcc
	s_cbranch_execz .LBB3_557
; %bb.544:                              ;   in Loop: Header=BB3_517 Depth=2
	s_andn2_b64 vcc, exec, s[6:7]
	v_xad_u32 v0, v1, -1, s71
	s_cbranch_vccnz .LBB3_554
; %bb.545:                              ;   in Loop: Header=BB3_517 Depth=2
	v_ashrrev_i32_e32 v5, 31, v4
	v_lshlrev_b64 v[6:7], 2, v[4:5]
	v_mov_b32_e32 v1, s37
	v_add_co_u32_e32 v6, vcc, s31, v6
	v_addc_co_u32_e32 v7, vcc, v1, v7, vcc
	global_load_dword v5, v[6:7], off
	s_andn2_b64 vcc, exec, s[60:61]
	s_cbranch_vccz .LBB3_555
	s_branch .LBB3_556
.LBB3_546:                              ;   in Loop: Header=BB3_517 Depth=2
	s_andn2_saveexec_b64 s[54:55], s[54:55]
	s_cbranch_execz .LBB3_559
.LBB3_547:                              ;   in Loop: Header=BB3_517 Depth=2
	s_mov_b64 s[60:61], exec
	v_mbcnt_lo_u32_b32 v0, s60, 0
	v_mbcnt_hi_u32_b32 v0, s61, v0
	v_cmp_eq_u32_e32 vcc, 0, v0
                                        ; implicit-def: $vgpr1
	s_and_saveexec_b64 s[58:59], vcc
	s_cbranch_execz .LBB3_549
; %bb.548:                              ;   in Loop: Header=BB3_517 Depth=2
	s_bcnt1_i32_b64 s44, s[60:61]
	v_mov_b32_e32 v1, s44
	global_atomic_add v1, v29, v1, s[28:29] offset:384 glc
.LBB3_549:                              ;   in Loop: Header=BB3_517 Depth=2
	s_or_b64 exec, exec, s[58:59]
	s_waitcnt vmcnt(0)
	v_readfirstlane_b32 s44, v1
	s_andn2_b64 vcc, exec, s[6:7]
	v_add_u32_e32 v0, s44, v0
	s_cbranch_vccnz .LBB3_551
; %bb.550:                              ;   in Loop: Header=BB3_517 Depth=2
	v_ashrrev_i32_e32 v5, 31, v4
	v_lshlrev_b64 v[6:7], 2, v[4:5]
	v_mov_b32_e32 v1, s37
	v_add_co_u32_e32 v6, vcc, s31, v6
	v_addc_co_u32_e32 v7, vcc, v1, v7, vcc
	global_load_dword v5, v[6:7], off
	s_cbranch_execz .LBB3_552
	s_branch .LBB3_553
.LBB3_551:                              ;   in Loop: Header=BB3_517 Depth=2
                                        ; implicit-def: $vgpr5
.LBB3_552:                              ;   in Loop: Header=BB3_517 Depth=2
	s_waitcnt vmcnt(0)
	v_add3_u32 v5, s25, v4, 1
.LBB3_553:                              ;   in Loop: Header=BB3_517 Depth=2
	s_or_b64 s[56:57], s[56:57], exec
	s_or_b64 exec, exec, s[54:55]
	s_and_saveexec_b64 s[54:55], s[56:57]
	s_cbranch_execnz .LBB3_560
	s_branch .LBB3_561
.LBB3_554:                              ;   in Loop: Header=BB3_517 Depth=2
                                        ; implicit-def: $vgpr5
.LBB3_555:                              ;   in Loop: Header=BB3_517 Depth=2
	s_waitcnt vmcnt(0)
	v_add3_u32 v5, v8, s25, 1
.LBB3_556:                              ;   in Loop: Header=BB3_517 Depth=2
	s_mov_b64 s[60:61], exec
.LBB3_557:                              ;   in Loop: Header=BB3_517 Depth=2
	s_or_b64 exec, exec, s[58:59]
	s_and_b64 s[58:59], s[60:61], exec
.LBB3_558:                              ;   in Loop: Header=BB3_517 Depth=2
	s_or_b64 exec, exec, s[56:57]
	s_and_b64 s[56:57], s[58:59], exec
	s_andn2_saveexec_b64 s[54:55], s[54:55]
	s_cbranch_execnz .LBB3_547
.LBB3_559:                              ;   in Loop: Header=BB3_517 Depth=2
	s_or_b64 exec, exec, s[54:55]
	s_and_saveexec_b64 s[54:55], s[56:57]
	s_cbranch_execz .LBB3_561
.LBB3_560:                              ;   in Loop: Header=BB3_517 Depth=2
	v_ashrrev_i32_e32 v1, 31, v0
	v_lshlrev_b64 v[0:1], 2, v[0:1]
	v_mov_b32_e32 v6, s62
	v_add_co_u32_e32 v0, vcc, s33, v0
	v_addc_co_u32_e32 v1, vcc, v6, v1, vcc
	s_waitcnt vmcnt(0)
	global_store_dword v[0:1], v5, off
.LBB3_561:                              ;   in Loop: Header=BB3_517 Depth=2
	s_or_b64 exec, exec, s[54:55]
	v_cmp_gt_i32_e32 vcc, 0, v2
	v_cndmask_b32_e64 v0, v61, 0, vcc
	v_xor_b32_e32 v1, v0, v2
	v_cmp_ge_u32_e32 vcc, v1, v40
	s_mov_b64 s[56:57], 0
                                        ; implicit-def: $vgpr2
                                        ; implicit-def: $vgpr0
	s_and_saveexec_b64 s[54:55], vcc
	s_xor_b64 s[54:55], exec, s[54:55]
	s_cbranch_execz .LBB3_568
; %bb.562:                              ;   in Loop: Header=BB3_517 Depth=2
	v_cmp_eq_u32_e32 vcc, v1, v40
	s_mov_b64 s[58:59], 0
                                        ; implicit-def: $vgpr2
                                        ; implicit-def: $vgpr0
	s_and_saveexec_b64 s[56:57], vcc
	s_cbranch_execz .LBB3_580
; %bb.563:                              ;   in Loop: Header=BB3_517 Depth=2
	s_mov_b64 s[60:61], exec
	v_mbcnt_lo_u32_b32 v0, s60, 0
	v_mbcnt_hi_u32_b32 v0, s61, v0
	v_cmp_eq_u32_e32 vcc, 0, v0
                                        ; implicit-def: $vgpr1
	s_and_saveexec_b64 s[58:59], vcc
	s_cbranch_execz .LBB3_565
; %bb.564:                              ;   in Loop: Header=BB3_517 Depth=2
	s_bcnt1_i32_b64 s44, s[60:61]
	v_mov_b32_e32 v1, s44
	global_atomic_add v1, v29, v1, s[28:29] offset:512 glc
.LBB3_565:                              ;   in Loop: Header=BB3_517 Depth=2
	s_or_b64 exec, exec, s[58:59]
	s_waitcnt vmcnt(0)
	v_readfirstlane_b32 s44, v1
	v_add_u32_e32 v1, s44, v0
	v_cmp_lt_i32_e32 vcc, v1, v41
	s_mov_b64 s[60:61], 0
                                        ; implicit-def: $vgpr2
                                        ; implicit-def: $vgpr0
	s_and_saveexec_b64 s[58:59], vcc
	s_cbranch_execz .LBB3_579
; %bb.566:                              ;   in Loop: Header=BB3_517 Depth=2
	s_andn2_b64 vcc, exec, s[6:7]
	v_xad_u32 v0, v1, -1, s71
	s_cbranch_vccnz .LBB3_576
; %bb.567:                              ;   in Loop: Header=BB3_517 Depth=2
	v_ashrrev_i32_e32 v5, 31, v4
	v_lshlrev_b64 v[6:7], 2, v[4:5]
	v_mov_b32_e32 v1, s65
	v_add_co_u32_e32 v6, vcc, s64, v6
	v_addc_co_u32_e32 v7, vcc, v1, v7, vcc
	global_load_dword v2, v[6:7], off
	s_andn2_b64 vcc, exec, s[60:61]
	s_cbranch_vccz .LBB3_577
	s_branch .LBB3_578
.LBB3_568:                              ;   in Loop: Header=BB3_517 Depth=2
	s_andn2_saveexec_b64 s[54:55], s[54:55]
	s_cbranch_execz .LBB3_581
.LBB3_569:                              ;   in Loop: Header=BB3_517 Depth=2
	s_mov_b64 s[60:61], exec
	v_mbcnt_lo_u32_b32 v0, s60, 0
	v_mbcnt_hi_u32_b32 v0, s61, v0
	v_cmp_eq_u32_e32 vcc, 0, v0
                                        ; implicit-def: $vgpr1
	s_and_saveexec_b64 s[58:59], vcc
	s_cbranch_execz .LBB3_571
; %bb.570:                              ;   in Loop: Header=BB3_517 Depth=2
	s_bcnt1_i32_b64 s44, s[60:61]
	v_mov_b32_e32 v1, s44
	global_atomic_add v1, v29, v1, s[28:29] offset:384 glc
.LBB3_571:                              ;   in Loop: Header=BB3_517 Depth=2
	s_or_b64 exec, exec, s[58:59]
	s_waitcnt vmcnt(0)
	v_readfirstlane_b32 s44, v1
	s_andn2_b64 vcc, exec, s[6:7]
	v_add_u32_e32 v0, s44, v0
	s_cbranch_vccnz .LBB3_573
; %bb.572:                              ;   in Loop: Header=BB3_517 Depth=2
	v_ashrrev_i32_e32 v5, 31, v4
	v_lshlrev_b64 v[6:7], 2, v[4:5]
	v_mov_b32_e32 v1, s65
	v_add_co_u32_e32 v6, vcc, s64, v6
	v_addc_co_u32_e32 v7, vcc, v1, v7, vcc
	global_load_dword v2, v[6:7], off
	s_cbranch_execz .LBB3_574
	s_branch .LBB3_575
.LBB3_573:                              ;   in Loop: Header=BB3_517 Depth=2
                                        ; implicit-def: $vgpr2
.LBB3_574:                              ;   in Loop: Header=BB3_517 Depth=2
	s_waitcnt vmcnt(0)
	v_add3_u32 v2, s25, v4, 2
.LBB3_575:                              ;   in Loop: Header=BB3_517 Depth=2
	s_or_b64 s[56:57], s[56:57], exec
	s_or_b64 exec, exec, s[54:55]
	s_and_saveexec_b64 s[54:55], s[56:57]
	s_cbranch_execnz .LBB3_582
	s_branch .LBB3_583
.LBB3_576:                              ;   in Loop: Header=BB3_517 Depth=2
                                        ; implicit-def: $vgpr2
.LBB3_577:                              ;   in Loop: Header=BB3_517 Depth=2
	s_waitcnt vmcnt(0)
	v_add3_u32 v2, v8, s25, 2
.LBB3_578:                              ;   in Loop: Header=BB3_517 Depth=2
	s_mov_b64 s[60:61], exec
.LBB3_579:                              ;   in Loop: Header=BB3_517 Depth=2
	s_or_b64 exec, exec, s[58:59]
	s_and_b64 s[58:59], s[60:61], exec
.LBB3_580:                              ;   in Loop: Header=BB3_517 Depth=2
	s_or_b64 exec, exec, s[56:57]
	s_and_b64 s[56:57], s[58:59], exec
	s_andn2_saveexec_b64 s[54:55], s[54:55]
	s_cbranch_execnz .LBB3_569
.LBB3_581:                              ;   in Loop: Header=BB3_517 Depth=2
	s_or_b64 exec, exec, s[54:55]
	s_and_saveexec_b64 s[54:55], s[56:57]
	s_cbranch_execz .LBB3_583
.LBB3_582:                              ;   in Loop: Header=BB3_517 Depth=2
	v_ashrrev_i32_e32 v1, 31, v0
	v_lshlrev_b64 v[0:1], 2, v[0:1]
	s_waitcnt vmcnt(0)
	v_mov_b32_e32 v5, s62
	v_add_co_u32_e32 v0, vcc, s33, v0
	v_addc_co_u32_e32 v1, vcc, v5, v1, vcc
	global_store_dword v[0:1], v2, off
.LBB3_583:                              ;   in Loop: Header=BB3_517 Depth=2
	s_or_b64 exec, exec, s[54:55]
	v_cmp_gt_i32_e32 vcc, 0, v3
	v_cndmask_b32_e64 v0, v61, 0, vcc
	v_xor_b32_e32 v1, v0, v3
	v_cmp_ge_u32_e32 vcc, v1, v40
	s_mov_b64 s[56:57], 0
                                        ; implicit-def: $vgpr2
                                        ; implicit-def: $vgpr0
	s_and_saveexec_b64 s[54:55], vcc
	s_xor_b64 s[54:55], exec, s[54:55]
	s_cbranch_execz .LBB3_590
; %bb.584:                              ;   in Loop: Header=BB3_517 Depth=2
	v_cmp_eq_u32_e32 vcc, v1, v40
	s_mov_b64 s[58:59], 0
                                        ; implicit-def: $vgpr2
                                        ; implicit-def: $vgpr0
	s_and_saveexec_b64 s[56:57], vcc
	s_cbranch_execz .LBB3_602
; %bb.585:                              ;   in Loop: Header=BB3_517 Depth=2
	s_mov_b64 s[60:61], exec
	v_mbcnt_lo_u32_b32 v0, s60, 0
	v_mbcnt_hi_u32_b32 v0, s61, v0
	v_cmp_eq_u32_e32 vcc, 0, v0
                                        ; implicit-def: $vgpr1
	s_and_saveexec_b64 s[58:59], vcc
	s_cbranch_execz .LBB3_587
; %bb.586:                              ;   in Loop: Header=BB3_517 Depth=2
	s_bcnt1_i32_b64 s44, s[60:61]
	v_mov_b32_e32 v1, s44
	global_atomic_add v1, v29, v1, s[28:29] offset:512 glc
.LBB3_587:                              ;   in Loop: Header=BB3_517 Depth=2
	s_or_b64 exec, exec, s[58:59]
	s_waitcnt vmcnt(0)
	v_readfirstlane_b32 s44, v1
	v_add_u32_e32 v1, s44, v0
	v_cmp_lt_i32_e32 vcc, v1, v41
	s_mov_b64 s[60:61], 0
                                        ; implicit-def: $vgpr2
                                        ; implicit-def: $vgpr0
	s_and_saveexec_b64 s[58:59], vcc
	s_cbranch_execz .LBB3_601
; %bb.588:                              ;   in Loop: Header=BB3_517 Depth=2
	s_andn2_b64 vcc, exec, s[6:7]
	v_xad_u32 v0, v1, -1, s71
	s_cbranch_vccnz .LBB3_598
; %bb.589:                              ;   in Loop: Header=BB3_517 Depth=2
	v_ashrrev_i32_e32 v5, 31, v4
	v_lshlrev_b64 v[2:3], 2, v[4:5]
	v_mov_b32_e32 v1, s67
	v_add_co_u32_e32 v2, vcc, s66, v2
	v_addc_co_u32_e32 v3, vcc, v1, v3, vcc
	global_load_dword v2, v[2:3], off
	s_andn2_b64 vcc, exec, s[60:61]
	s_cbranch_vccz .LBB3_599
	s_branch .LBB3_600
.LBB3_590:                              ;   in Loop: Header=BB3_517 Depth=2
	s_andn2_saveexec_b64 s[54:55], s[54:55]
	s_cbranch_execz .LBB3_603
.LBB3_591:                              ;   in Loop: Header=BB3_517 Depth=2
	s_mov_b64 s[60:61], exec
	v_mbcnt_lo_u32_b32 v0, s60, 0
	v_mbcnt_hi_u32_b32 v0, s61, v0
	v_cmp_eq_u32_e32 vcc, 0, v0
                                        ; implicit-def: $vgpr1
	s_and_saveexec_b64 s[58:59], vcc
	s_cbranch_execz .LBB3_593
; %bb.592:                              ;   in Loop: Header=BB3_517 Depth=2
	s_bcnt1_i32_b64 s44, s[60:61]
	v_mov_b32_e32 v1, s44
	global_atomic_add v1, v29, v1, s[28:29] offset:384 glc
.LBB3_593:                              ;   in Loop: Header=BB3_517 Depth=2
	s_or_b64 exec, exec, s[58:59]
	s_waitcnt vmcnt(0)
	v_readfirstlane_b32 s44, v1
	s_andn2_b64 vcc, exec, s[6:7]
	v_add_u32_e32 v0, s44, v0
	s_cbranch_vccnz .LBB3_595
; %bb.594:                              ;   in Loop: Header=BB3_517 Depth=2
	v_ashrrev_i32_e32 v5, 31, v4
	v_lshlrev_b64 v[2:3], 2, v[4:5]
	v_mov_b32_e32 v1, s67
	v_add_co_u32_e32 v2, vcc, s66, v2
	v_addc_co_u32_e32 v3, vcc, v1, v3, vcc
	global_load_dword v2, v[2:3], off
	s_cbranch_execz .LBB3_596
	s_branch .LBB3_597
.LBB3_595:                              ;   in Loop: Header=BB3_517 Depth=2
                                        ; implicit-def: $vgpr2
.LBB3_596:                              ;   in Loop: Header=BB3_517 Depth=2
	s_waitcnt vmcnt(0)
	v_add3_u32 v2, s25, v4, 3
.LBB3_597:                              ;   in Loop: Header=BB3_517 Depth=2
	s_or_b64 s[56:57], s[56:57], exec
	s_or_b64 exec, exec, s[54:55]
	s_and_saveexec_b64 s[54:55], s[56:57]
	s_cbranch_execz .LBB3_516
	s_branch .LBB3_604
.LBB3_598:                              ;   in Loop: Header=BB3_517 Depth=2
                                        ; implicit-def: $vgpr2
.LBB3_599:                              ;   in Loop: Header=BB3_517 Depth=2
	s_waitcnt vmcnt(0)
	v_add3_u32 v2, v8, s25, 3
.LBB3_600:                              ;   in Loop: Header=BB3_517 Depth=2
	s_mov_b64 s[60:61], exec
.LBB3_601:                              ;   in Loop: Header=BB3_517 Depth=2
	s_or_b64 exec, exec, s[58:59]
	s_and_b64 s[58:59], s[60:61], exec
.LBB3_602:                              ;   in Loop: Header=BB3_517 Depth=2
	s_or_b64 exec, exec, s[56:57]
	s_and_b64 s[56:57], s[58:59], exec
	s_andn2_saveexec_b64 s[54:55], s[54:55]
	s_cbranch_execnz .LBB3_591
.LBB3_603:                              ;   in Loop: Header=BB3_517 Depth=2
	s_or_b64 exec, exec, s[54:55]
	s_and_saveexec_b64 s[54:55], s[56:57]
	s_cbranch_execz .LBB3_516
.LBB3_604:                              ;   in Loop: Header=BB3_517 Depth=2
	v_ashrrev_i32_e32 v1, 31, v0
	v_lshlrev_b64 v[0:1], 2, v[0:1]
	v_mov_b32_e32 v3, s62
	v_add_co_u32_e32 v0, vcc, s33, v0
	v_addc_co_u32_e32 v1, vcc, v3, v1, vcc
	s_waitcnt vmcnt(0)
	global_store_dword v[0:1], v2, off
	s_branch .LBB3_516
.LBB3_605:                              ;   in Loop: Header=BB3_20 Depth=1
	s_or_b64 exec, exec, s[4:5]
	s_and_saveexec_b64 s[4:5], s[2:3]
	s_cbranch_execz .LBB3_622
; %bb.606:                              ;   in Loop: Header=BB3_20 Depth=1
	global_load_dword v0, v[16:17], off
	s_mov_b64 s[56:57], 0
	s_mov_b64 s[54:55], 0
                                        ; implicit-def: $vgpr2
	s_waitcnt vmcnt(0)
	v_cmp_gt_i32_e32 vcc, 0, v0
	v_cndmask_b32_e64 v1, v61, 0, vcc
	v_xor_b32_e32 v1, v1, v0
	s_waitcnt lgkmcnt(0)
	v_cmp_ge_u32_e32 vcc, v1, v40
                                        ; implicit-def: $vgpr0
	s_and_saveexec_b64 s[52:53], vcc
	s_xor_b64 s[52:53], exec, s[52:53]
	s_cbranch_execz .LBB3_616
; %bb.607:                              ;   in Loop: Header=BB3_20 Depth=1
	v_cmp_eq_u32_e32 vcc, v1, v40
	s_mov_b64 s[58:59], 0
                                        ; implicit-def: $vgpr0
	s_and_saveexec_b64 s[54:55], vcc
	s_cbranch_execz .LBB3_613
; %bb.608:                              ;   in Loop: Header=BB3_20 Depth=1
	s_mov_b64 s[58:59], exec
	v_mbcnt_lo_u32_b32 v0, s58, 0
	v_mbcnt_hi_u32_b32 v0, s59, v0
	v_cmp_eq_u32_e32 vcc, 0, v0
                                        ; implicit-def: $vgpr1
	s_and_saveexec_b64 s[56:57], vcc
	s_cbranch_execz .LBB3_610
; %bb.609:                              ;   in Loop: Header=BB3_20 Depth=1
	s_bcnt1_i32_b64 s44, s[58:59]
	v_mov_b32_e32 v1, s44
	global_atomic_add v1, v29, v1, s[28:29] offset:512 glc
.LBB3_610:                              ;   in Loop: Header=BB3_20 Depth=1
	s_or_b64 exec, exec, s[56:57]
	s_waitcnt vmcnt(0)
	v_readfirstlane_b32 s44, v1
	v_add_u32_e32 v1, s44, v0
	v_cmp_lt_i32_e32 vcc, v1, v41
	s_mov_b64 s[56:57], 0
	s_mov_b64 s[58:59], 0
                                        ; implicit-def: $vgpr0
	s_and_saveexec_b64 s[60:61], vcc
	s_xor_b64 s[60:61], exec, s[60:61]
; %bb.611:                              ;   in Loop: Header=BB3_20 Depth=1
	v_xad_u32 v0, v1, -1, s71
	s_and_b64 s[58:59], s[46:47], exec
	s_and_b64 s[56:57], s[6:7], exec
; %bb.612:                              ;   in Loop: Header=BB3_20 Depth=1
	s_or_b64 exec, exec, s[60:61]
	s_and_b64 s[58:59], s[58:59], exec
	s_and_b64 s[56:57], s[56:57], exec
.LBB3_613:                              ;   in Loop: Header=BB3_20 Depth=1
	s_or_b64 exec, exec, s[54:55]
	s_and_b64 s[54:55], s[58:59], exec
	s_and_b64 s[56:57], s[56:57], exec
	v_mov_b32_e32 v2, v50
	s_andn2_saveexec_b64 s[52:53], s[52:53]
	s_cbranch_execnz .LBB3_617
.LBB3_614:                              ;   in Loop: Header=BB3_20 Depth=1
	s_or_b64 exec, exec, s[52:53]
	s_and_saveexec_b64 s[52:53], s[56:57]
	s_cbranch_execz .LBB3_620
.LBB3_615:                              ;   in Loop: Header=BB3_20 Depth=1
	global_load_dword v2, v[18:19], off
	s_or_b64 s[54:55], s[54:55], exec
	s_or_b64 exec, exec, s[52:53]
	s_and_b64 exec, exec, s[54:55]
	s_cbranch_execnz .LBB3_621
	s_branch .LBB3_622
.LBB3_616:                              ;   in Loop: Header=BB3_20 Depth=1
	s_andn2_saveexec_b64 s[52:53], s[52:53]
	s_cbranch_execz .LBB3_614
.LBB3_617:                              ;   in Loop: Header=BB3_20 Depth=1
	s_mov_b64 s[60:61], exec
	v_mbcnt_lo_u32_b32 v0, s60, 0
	v_mbcnt_hi_u32_b32 v0, s61, v0
	v_cmp_eq_u32_e32 vcc, 0, v0
                                        ; implicit-def: $vgpr1
	s_and_saveexec_b64 s[58:59], vcc
	s_cbranch_execz .LBB3_619
; %bb.618:                              ;   in Loop: Header=BB3_20 Depth=1
	s_bcnt1_i32_b64 s44, s[60:61]
	v_mov_b32_e32 v1, s44
	global_atomic_add v1, v29, v1, s[28:29] offset:384 glc
.LBB3_619:                              ;   in Loop: Header=BB3_20 Depth=1
	s_or_b64 exec, exec, s[58:59]
	s_andn2_b64 s[54:55], s[54:55], exec
	s_and_b64 s[58:59], s[46:47], exec
	s_waitcnt vmcnt(0)
	v_readfirstlane_b32 s44, v1
	s_or_b64 s[54:55], s[54:55], s[58:59]
	s_andn2_b64 s[56:57], s[56:57], exec
	s_and_b64 s[58:59], s[6:7], exec
	v_add_u32_e32 v0, s44, v0
	s_or_b64 s[56:57], s[56:57], s[58:59]
	v_mov_b32_e32 v2, v50
	s_or_b64 exec, exec, s[52:53]
	s_and_saveexec_b64 s[52:53], s[56:57]
	s_cbranch_execnz .LBB3_615
.LBB3_620:                              ;   in Loop: Header=BB3_20 Depth=1
	s_or_b64 exec, exec, s[52:53]
	s_and_b64 exec, exec, s[54:55]
	s_cbranch_execz .LBB3_622
.LBB3_621:                              ;   in Loop: Header=BB3_20 Depth=1
	v_ashrrev_i32_e32 v1, 31, v0
	v_lshlrev_b64 v[0:1], 2, v[0:1]
	v_mov_b32_e32 v3, s62
	v_add_co_u32_e32 v0, vcc, s33, v0
	v_addc_co_u32_e32 v1, vcc, v3, v1, vcc
	s_waitcnt vmcnt(0)
	global_store_dword v[0:1], v2, off
.LBB3_622:                              ;   in Loop: Header=BB3_20 Depth=1
	s_or_b64 exec, exec, s[4:5]
	s_and_saveexec_b64 s[4:5], s[0:1]
	s_cbranch_execz .LBB3_639
; %bb.623:                              ;   in Loop: Header=BB3_20 Depth=1
	global_load_dword v0, v[12:13], off
	s_mov_b64 s[56:57], 0
	s_mov_b64 s[54:55], 0
                                        ; implicit-def: $vgpr2
	s_waitcnt vmcnt(0)
	v_cmp_gt_i32_e32 vcc, 0, v0
	v_cndmask_b32_e64 v1, v61, 0, vcc
	v_xor_b32_e32 v1, v1, v0
	s_waitcnt lgkmcnt(0)
	v_cmp_ge_u32_e32 vcc, v1, v40
                                        ; implicit-def: $vgpr0
	s_and_saveexec_b64 s[52:53], vcc
	s_xor_b64 s[52:53], exec, s[52:53]
	s_cbranch_execz .LBB3_633
; %bb.624:                              ;   in Loop: Header=BB3_20 Depth=1
	v_cmp_eq_u32_e32 vcc, v1, v40
	s_mov_b64 s[58:59], 0
                                        ; implicit-def: $vgpr0
	s_and_saveexec_b64 s[54:55], vcc
	s_cbranch_execz .LBB3_630
; %bb.625:                              ;   in Loop: Header=BB3_20 Depth=1
	s_mov_b64 s[58:59], exec
	v_mbcnt_lo_u32_b32 v0, s58, 0
	v_mbcnt_hi_u32_b32 v0, s59, v0
	v_cmp_eq_u32_e32 vcc, 0, v0
                                        ; implicit-def: $vgpr1
	s_and_saveexec_b64 s[56:57], vcc
	s_cbranch_execz .LBB3_627
; %bb.626:                              ;   in Loop: Header=BB3_20 Depth=1
	s_bcnt1_i32_b64 s44, s[58:59]
	v_mov_b32_e32 v1, s44
	global_atomic_add v1, v29, v1, s[28:29] offset:512 glc
.LBB3_627:                              ;   in Loop: Header=BB3_20 Depth=1
	s_or_b64 exec, exec, s[56:57]
	s_waitcnt vmcnt(0)
	v_readfirstlane_b32 s44, v1
	v_add_u32_e32 v1, s44, v0
	v_cmp_lt_i32_e32 vcc, v1, v41
	s_mov_b64 s[56:57], 0
	s_mov_b64 s[58:59], 0
                                        ; implicit-def: $vgpr0
	s_and_saveexec_b64 s[60:61], vcc
	s_xor_b64 s[60:61], exec, s[60:61]
; %bb.628:                              ;   in Loop: Header=BB3_20 Depth=1
	v_xad_u32 v0, v1, -1, s71
	s_and_b64 s[58:59], s[46:47], exec
	s_and_b64 s[56:57], s[6:7], exec
; %bb.629:                              ;   in Loop: Header=BB3_20 Depth=1
	s_or_b64 exec, exec, s[60:61]
	s_and_b64 s[58:59], s[58:59], exec
	s_and_b64 s[56:57], s[56:57], exec
.LBB3_630:                              ;   in Loop: Header=BB3_20 Depth=1
	s_or_b64 exec, exec, s[54:55]
	s_and_b64 s[54:55], s[58:59], exec
	s_and_b64 s[56:57], s[56:57], exec
	v_mov_b32_e32 v2, v27
	s_andn2_saveexec_b64 s[52:53], s[52:53]
	s_cbranch_execnz .LBB3_634
.LBB3_631:                              ;   in Loop: Header=BB3_20 Depth=1
	s_or_b64 exec, exec, s[52:53]
	s_and_saveexec_b64 s[52:53], s[56:57]
	s_cbranch_execz .LBB3_637
.LBB3_632:                              ;   in Loop: Header=BB3_20 Depth=1
	global_load_dword v2, v[14:15], off
	s_or_b64 s[54:55], s[54:55], exec
	s_or_b64 exec, exec, s[52:53]
	s_and_b64 exec, exec, s[54:55]
	s_cbranch_execnz .LBB3_638
	s_branch .LBB3_639
.LBB3_633:                              ;   in Loop: Header=BB3_20 Depth=1
	s_andn2_saveexec_b64 s[52:53], s[52:53]
	s_cbranch_execz .LBB3_631
.LBB3_634:                              ;   in Loop: Header=BB3_20 Depth=1
	s_mov_b64 s[60:61], exec
	v_mbcnt_lo_u32_b32 v0, s60, 0
	v_mbcnt_hi_u32_b32 v0, s61, v0
	v_cmp_eq_u32_e32 vcc, 0, v0
                                        ; implicit-def: $vgpr1
	s_and_saveexec_b64 s[58:59], vcc
	s_cbranch_execz .LBB3_636
; %bb.635:                              ;   in Loop: Header=BB3_20 Depth=1
	s_bcnt1_i32_b64 s44, s[60:61]
	v_mov_b32_e32 v1, s44
	global_atomic_add v1, v29, v1, s[28:29] offset:384 glc
.LBB3_636:                              ;   in Loop: Header=BB3_20 Depth=1
	s_or_b64 exec, exec, s[58:59]
	s_andn2_b64 s[54:55], s[54:55], exec
	s_and_b64 s[58:59], s[46:47], exec
	s_waitcnt vmcnt(0)
	v_readfirstlane_b32 s44, v1
	s_or_b64 s[54:55], s[54:55], s[58:59]
	s_andn2_b64 s[56:57], s[56:57], exec
	s_and_b64 s[58:59], s[6:7], exec
	v_add_u32_e32 v0, s44, v0
	s_or_b64 s[56:57], s[56:57], s[58:59]
	v_mov_b32_e32 v2, v27
	s_or_b64 exec, exec, s[52:53]
	s_and_saveexec_b64 s[52:53], s[56:57]
	s_cbranch_execnz .LBB3_632
.LBB3_637:                              ;   in Loop: Header=BB3_20 Depth=1
	s_or_b64 exec, exec, s[52:53]
	s_and_b64 exec, exec, s[54:55]
	s_cbranch_execz .LBB3_639
.LBB3_638:                              ;   in Loop: Header=BB3_20 Depth=1
	v_ashrrev_i32_e32 v1, 31, v0
	v_lshlrev_b64 v[0:1], 2, v[0:1]
	v_mov_b32_e32 v3, s62
	v_add_co_u32_e32 v0, vcc, s33, v0
	v_addc_co_u32_e32 v1, vcc, v3, v1, vcc
	s_waitcnt vmcnt(0)
	global_store_dword v[0:1], v2, off
.LBB3_639:                              ;   in Loop: Header=BB3_20 Depth=1
	s_or_b64 exec, exec, s[4:5]
.LBB3_640:                              ;   in Loop: Header=BB3_20 Depth=1
	s_add_i32 s91, s91, 1
	s_add_u32 s50, s50, 0x2000
	s_addc_u32 s51, s51, 0
	v_add_co_u32_e32 v38, vcc, 0x2000, v38
	s_cmp_eq_u32 s91, 3
	v_addc_co_u32_e32 v39, vcc, 0, v39, vcc
	s_mov_b64 s[4:5], -1
	s_cselect_b64 s[52:53], -1, 0
	s_branch .LBB3_19
.LBB3_641:
	s_andn2_b64 vcc, exec, s[4:5]
	s_cbranch_vccz .LBB3_823
; %bb.642:
	v_mov_b32_e32 v28, 0
	ds_read_b32 v26, v28 offset:16896
	s_add_i32 s18, s92, 32
	s_and_saveexec_b64 s[10:11], s[8:9]
	s_cbranch_execz .LBB3_774
; %bb.643:
	v_cndmask_b32_e64 v0, 0, 1, s[6:7]
	s_lshl_b32 s19, -1, s18
	s_mov_b64 s[8:9], 0
	v_mov_b32_e32 v29, s68
	v_mov_b32_e32 v30, s39
	v_bfrev_b32_e32 v31, -2
	v_cmp_ne_u32_e64 s[4:5], 1, v0
	s_branch .LBB3_647
.LBB3_644:                              ;   in Loop: Header=BB3_647 Depth=1
	s_waitcnt vmcnt(0)
	v_add3_u32 v1, v4, s25, 3
.LBB3_645:                              ;   in Loop: Header=BB3_647 Depth=1
	v_add_u32_e32 v2, s16, v0
	v_ashrrev_i32_e32 v3, 31, v2
	v_lshlrev_b64 v[2:3], 2, v[2:3]
	v_mov_b32_e32 v0, s62
	v_add_co_u32_e32 v2, vcc, s33, v2
	v_addc_co_u32_e32 v3, vcc, v0, v3, vcc
	s_waitcnt vmcnt(0)
	global_store_dword v[2:3], v1, off
.LBB3_646:                              ;   in Loop: Header=BB3_647 Depth=1
	s_or_b64 exec, exec, s[12:13]
	v_add_u32_e32 v20, s63, v20
	v_ashrrev_i32_e32 v21, 31, v20
	v_mov_b32_e32 v0, s69
	v_add_co_u32_e32 v22, vcc, s70, v20
	v_addc_co_u32_e32 v23, vcc, v0, v21, vcc
	v_cmp_le_u64_e32 vcc, s[34:35], v[22:23]
	s_or_b64 s[8:9], vcc, s[8:9]
	s_andn2_b64 exec, exec, s[8:9]
	s_cbranch_execz .LBB3_773
.LBB3_647:                              ; =>This Inner Loop Header: Depth=1
	v_lshlrev_b64 v[0:1], 4, v[20:21]
	v_add_co_u32_e32 v4, vcc, s24, v0
	s_waitcnt vmcnt(0)
	v_addc_co_u32_e32 v5, vcc, v29, v1, vcc
	global_load_dwordx4 v[0:3], v[4:5], off
	v_add_co_u32_e32 v8, vcc, s38, v4
	v_addc_co_u32_e32 v9, vcc, v5, v30, vcc
	global_load_dwordx4 v[4:7], v[8:9], off
	v_lshl_add_u32 v10, v20, 2, s36
	s_waitcnt vmcnt(1)
	v_cmp_gt_i32_e32 vcc, 0, v0
	v_cndmask_b32_e64 v11, v31, 0, vcc
	v_xor_b32_e32 v0, v11, v0
	v_and_b32_e32 v0, s19, v0
	s_waitcnt lgkmcnt(0)
	v_cmp_le_u32_e32 vcc, v0, v26
	s_and_saveexec_b64 s[12:13], vcc
	s_cbranch_execz .LBB3_655
; %bb.648:                              ;   in Loop: Header=BB3_647 Depth=1
	s_mov_b64 s[16:17], exec
	v_mbcnt_lo_u32_b32 v0, s16, 0
	v_mbcnt_hi_u32_b32 v0, s17, v0
	v_cmp_eq_u32_e32 vcc, 0, v0
                                        ; implicit-def: $vgpr11
	s_and_saveexec_b64 s[14:15], vcc
	s_cbranch_execz .LBB3_650
; %bb.649:                              ;   in Loop: Header=BB3_647 Depth=1
	s_bcnt1_i32_b64 s16, s[16:17]
	v_mov_b32_e32 v11, s16
	global_atomic_add v11, v28, v11, s[28:29] offset:384 glc
.LBB3_650:                              ;   in Loop: Header=BB3_647 Depth=1
	s_or_b64 exec, exec, s[14:15]
	s_and_b64 vcc, exec, s[4:5]
	s_waitcnt vmcnt(0)
	v_readfirstlane_b32 s16, v11
	s_cbranch_vccnz .LBB3_652
; %bb.651:                              ;   in Loop: Header=BB3_647 Depth=1
	v_ashrrev_i32_e32 v11, 31, v10
	v_lshlrev_b64 v[24:25], 2, v[10:11]
	v_mov_b32_e32 v11, s27
	v_add_co_u32_e32 v24, vcc, s26, v24
	v_addc_co_u32_e32 v25, vcc, v11, v25, vcc
	global_load_dword v11, v[24:25], off
	s_cbranch_execz .LBB3_653
	s_branch .LBB3_654
.LBB3_652:                              ;   in Loop: Header=BB3_647 Depth=1
                                        ; implicit-def: $vgpr11
.LBB3_653:                              ;   in Loop: Header=BB3_647 Depth=1
	s_waitcnt vmcnt(0)
	v_add_u32_e32 v11, s25, v10
.LBB3_654:                              ;   in Loop: Header=BB3_647 Depth=1
	v_add_u32_e32 v24, s16, v0
	v_ashrrev_i32_e32 v25, 31, v24
	v_lshlrev_b64 v[24:25], 2, v[24:25]
	v_mov_b32_e32 v0, s62
	v_add_co_u32_e32 v24, vcc, s33, v24
	v_addc_co_u32_e32 v25, vcc, v0, v25, vcc
	s_waitcnt vmcnt(0)
	global_store_dword v[24:25], v11, off
.LBB3_655:                              ;   in Loop: Header=BB3_647 Depth=1
	s_or_b64 exec, exec, s[12:13]
	v_cmp_gt_i32_e32 vcc, 0, v1
	v_cndmask_b32_e64 v0, v31, 0, vcc
	v_xor_b32_e32 v0, v0, v1
	v_and_b32_e32 v0, s19, v0
	v_cmp_le_u32_e32 vcc, v0, v26
	s_and_saveexec_b64 s[12:13], vcc
	s_cbranch_execz .LBB3_663
; %bb.656:                              ;   in Loop: Header=BB3_647 Depth=1
	s_mov_b64 s[16:17], exec
	v_mbcnt_lo_u32_b32 v0, s16, 0
	v_mbcnt_hi_u32_b32 v0, s17, v0
	v_cmp_eq_u32_e32 vcc, 0, v0
                                        ; implicit-def: $vgpr1
	s_and_saveexec_b64 s[14:15], vcc
	s_cbranch_execz .LBB3_658
; %bb.657:                              ;   in Loop: Header=BB3_647 Depth=1
	s_bcnt1_i32_b64 s16, s[16:17]
	v_mov_b32_e32 v1, s16
	global_atomic_add v1, v28, v1, s[28:29] offset:384 glc
.LBB3_658:                              ;   in Loop: Header=BB3_647 Depth=1
	s_or_b64 exec, exec, s[14:15]
	s_and_b64 vcc, exec, s[4:5]
	s_waitcnt vmcnt(0)
	v_readfirstlane_b32 s16, v1
	s_cbranch_vccnz .LBB3_660
; %bb.659:                              ;   in Loop: Header=BB3_647 Depth=1
	v_ashrrev_i32_e32 v11, 31, v10
	v_lshlrev_b64 v[24:25], 2, v[10:11]
	v_mov_b32_e32 v1, s37
	v_add_co_u32_e32 v24, vcc, s31, v24
	v_addc_co_u32_e32 v25, vcc, v1, v25, vcc
	global_load_dword v1, v[24:25], off
	s_cbranch_execz .LBB3_661
	s_branch .LBB3_662
.LBB3_660:                              ;   in Loop: Header=BB3_647 Depth=1
                                        ; implicit-def: $vgpr1
.LBB3_661:                              ;   in Loop: Header=BB3_647 Depth=1
	s_waitcnt vmcnt(0)
	v_add3_u32 v1, v10, s25, 1
.LBB3_662:                              ;   in Loop: Header=BB3_647 Depth=1
	v_add_u32_e32 v24, s16, v0
	v_ashrrev_i32_e32 v25, 31, v24
	v_lshlrev_b64 v[24:25], 2, v[24:25]
	v_mov_b32_e32 v0, s62
	v_add_co_u32_e32 v24, vcc, s33, v24
	v_addc_co_u32_e32 v25, vcc, v0, v25, vcc
	s_waitcnt vmcnt(0)
	global_store_dword v[24:25], v1, off
.LBB3_663:                              ;   in Loop: Header=BB3_647 Depth=1
	s_or_b64 exec, exec, s[12:13]
	v_cmp_gt_i32_e32 vcc, 0, v2
	v_cndmask_b32_e64 v0, v31, 0, vcc
	v_xor_b32_e32 v0, v0, v2
	v_and_b32_e32 v0, s19, v0
	v_cmp_le_u32_e32 vcc, v0, v26
	s_and_saveexec_b64 s[12:13], vcc
	s_cbranch_execz .LBB3_671
; %bb.664:                              ;   in Loop: Header=BB3_647 Depth=1
	s_mov_b64 s[16:17], exec
	v_mbcnt_lo_u32_b32 v0, s16, 0
	v_mbcnt_hi_u32_b32 v0, s17, v0
	v_cmp_eq_u32_e32 vcc, 0, v0
                                        ; implicit-def: $vgpr1
	s_and_saveexec_b64 s[14:15], vcc
	s_cbranch_execz .LBB3_666
; %bb.665:                              ;   in Loop: Header=BB3_647 Depth=1
	s_bcnt1_i32_b64 s16, s[16:17]
	v_mov_b32_e32 v1, s16
	global_atomic_add v1, v28, v1, s[28:29] offset:384 glc
.LBB3_666:                              ;   in Loop: Header=BB3_647 Depth=1
	s_or_b64 exec, exec, s[14:15]
	s_and_b64 vcc, exec, s[4:5]
	s_waitcnt vmcnt(0)
	v_readfirstlane_b32 s16, v1
	s_cbranch_vccnz .LBB3_668
; %bb.667:                              ;   in Loop: Header=BB3_647 Depth=1
	v_ashrrev_i32_e32 v11, 31, v10
	v_lshlrev_b64 v[24:25], 2, v[10:11]
	v_mov_b32_e32 v1, s65
	v_add_co_u32_e32 v24, vcc, s64, v24
	v_addc_co_u32_e32 v25, vcc, v1, v25, vcc
	global_load_dword v1, v[24:25], off
	s_cbranch_execz .LBB3_669
	s_branch .LBB3_670
.LBB3_668:                              ;   in Loop: Header=BB3_647 Depth=1
                                        ; implicit-def: $vgpr1
.LBB3_669:                              ;   in Loop: Header=BB3_647 Depth=1
	s_waitcnt vmcnt(0)
	v_add3_u32 v1, v10, s25, 2
.LBB3_670:                              ;   in Loop: Header=BB3_647 Depth=1
	v_add_u32_e32 v24, s16, v0
	v_ashrrev_i32_e32 v25, 31, v24
	v_lshlrev_b64 v[24:25], 2, v[24:25]
	v_mov_b32_e32 v0, s62
	v_add_co_u32_e32 v24, vcc, s33, v24
	v_addc_co_u32_e32 v25, vcc, v0, v25, vcc
	s_waitcnt vmcnt(0)
	global_store_dword v[24:25], v1, off
.LBB3_671:                              ;   in Loop: Header=BB3_647 Depth=1
	;; [unrolled: 50-line block ×3, first 2 shown]
	s_or_b64 exec, exec, s[12:13]
	v_mov_b32_e32 v0, s39
	v_add_co_u32_e32 v24, vcc, s38, v8
	v_addc_co_u32_e32 v25, vcc, v9, v0, vcc
	v_lshlrev_b64 v[0:1], 4, v[22:23]
	v_mov_b32_e32 v2, s68
	v_add_co_u32_e32 v32, vcc, s24, v0
	v_addc_co_u32_e32 v33, vcc, v2, v1, vcc
	global_load_dwordx4 v[8:11], v[24:25], off
	global_load_dwordx4 v[0:3], v[32:33], off
	v_add_co_u32_e32 v21, vcc, s30, v20
	s_waitcnt vmcnt(2)
	v_cmp_gt_i32_e32 vcc, 0, v4
	v_cndmask_b32_e64 v23, v31, 0, vcc
	v_xor_b32_e32 v4, v23, v4
	v_and_b32_e32 v4, s19, v4
	v_lshl_add_u32 v24, v21, 2, s36
	v_cmp_le_u32_e32 vcc, v4, v26
	s_and_saveexec_b64 s[12:13], vcc
	s_cbranch_execz .LBB3_687
; %bb.680:                              ;   in Loop: Header=BB3_647 Depth=1
	s_mov_b64 s[16:17], exec
	v_mbcnt_lo_u32_b32 v4, s16, 0
	v_mbcnt_hi_u32_b32 v4, s17, v4
	v_cmp_eq_u32_e32 vcc, 0, v4
                                        ; implicit-def: $vgpr23
	s_and_saveexec_b64 s[14:15], vcc
	s_cbranch_execz .LBB3_682
; %bb.681:                              ;   in Loop: Header=BB3_647 Depth=1
	s_bcnt1_i32_b64 s16, s[16:17]
	v_mov_b32_e32 v23, s16
	global_atomic_add v23, v28, v23, s[28:29] offset:384 glc
.LBB3_682:                              ;   in Loop: Header=BB3_647 Depth=1
	s_or_b64 exec, exec, s[14:15]
	s_and_b64 vcc, exec, s[4:5]
	s_waitcnt vmcnt(0)
	v_readfirstlane_b32 s16, v23
	s_cbranch_vccnz .LBB3_684
; %bb.683:                              ;   in Loop: Header=BB3_647 Depth=1
	v_ashrrev_i32_e32 v25, 31, v24
	v_lshlrev_b64 v[32:33], 2, v[24:25]
	v_mov_b32_e32 v23, s27
	v_add_co_u32_e32 v32, vcc, s26, v32
	v_addc_co_u32_e32 v33, vcc, v23, v33, vcc
	global_load_dword v23, v[32:33], off
	s_cbranch_execz .LBB3_685
	s_branch .LBB3_686
.LBB3_684:                              ;   in Loop: Header=BB3_647 Depth=1
                                        ; implicit-def: $vgpr23
.LBB3_685:                              ;   in Loop: Header=BB3_647 Depth=1
	s_waitcnt vmcnt(0)
	v_add_u32_e32 v23, s25, v24
.LBB3_686:                              ;   in Loop: Header=BB3_647 Depth=1
	v_add_u32_e32 v32, s16, v4
	v_ashrrev_i32_e32 v33, 31, v32
	v_lshlrev_b64 v[32:33], 2, v[32:33]
	v_mov_b32_e32 v4, s62
	v_add_co_u32_e32 v32, vcc, s33, v32
	v_addc_co_u32_e32 v33, vcc, v4, v33, vcc
	s_waitcnt vmcnt(0)
	global_store_dword v[32:33], v23, off
.LBB3_687:                              ;   in Loop: Header=BB3_647 Depth=1
	s_or_b64 exec, exec, s[12:13]
	v_cmp_gt_i32_e32 vcc, 0, v5
	v_cndmask_b32_e64 v4, v31, 0, vcc
	v_xor_b32_e32 v4, v4, v5
	v_and_b32_e32 v4, s19, v4
	v_cmp_le_u32_e32 vcc, v4, v26
	s_and_saveexec_b64 s[12:13], vcc
	s_cbranch_execz .LBB3_695
; %bb.688:                              ;   in Loop: Header=BB3_647 Depth=1
	s_mov_b64 s[16:17], exec
	v_mbcnt_lo_u32_b32 v4, s16, 0
	v_mbcnt_hi_u32_b32 v4, s17, v4
	v_cmp_eq_u32_e32 vcc, 0, v4
                                        ; implicit-def: $vgpr5
	s_and_saveexec_b64 s[14:15], vcc
	s_cbranch_execz .LBB3_690
; %bb.689:                              ;   in Loop: Header=BB3_647 Depth=1
	s_bcnt1_i32_b64 s16, s[16:17]
	v_mov_b32_e32 v5, s16
	global_atomic_add v5, v28, v5, s[28:29] offset:384 glc
.LBB3_690:                              ;   in Loop: Header=BB3_647 Depth=1
	s_or_b64 exec, exec, s[14:15]
	s_and_b64 vcc, exec, s[4:5]
	s_waitcnt vmcnt(0)
	v_readfirstlane_b32 s16, v5
	s_cbranch_vccnz .LBB3_692
; %bb.691:                              ;   in Loop: Header=BB3_647 Depth=1
	v_ashrrev_i32_e32 v25, 31, v24
	v_lshlrev_b64 v[32:33], 2, v[24:25]
	v_mov_b32_e32 v5, s37
	v_add_co_u32_e32 v32, vcc, s31, v32
	v_addc_co_u32_e32 v33, vcc, v5, v33, vcc
	global_load_dword v5, v[32:33], off
	s_cbranch_execz .LBB3_693
	s_branch .LBB3_694
.LBB3_692:                              ;   in Loop: Header=BB3_647 Depth=1
                                        ; implicit-def: $vgpr5
.LBB3_693:                              ;   in Loop: Header=BB3_647 Depth=1
	s_waitcnt vmcnt(0)
	v_add3_u32 v5, v24, s25, 1
.LBB3_694:                              ;   in Loop: Header=BB3_647 Depth=1
	v_add_u32_e32 v32, s16, v4
	v_ashrrev_i32_e32 v33, 31, v32
	v_lshlrev_b64 v[32:33], 2, v[32:33]
	v_mov_b32_e32 v4, s62
	v_add_co_u32_e32 v32, vcc, s33, v32
	v_addc_co_u32_e32 v33, vcc, v4, v33, vcc
	s_waitcnt vmcnt(0)
	global_store_dword v[32:33], v5, off
.LBB3_695:                              ;   in Loop: Header=BB3_647 Depth=1
	s_or_b64 exec, exec, s[12:13]
	v_cmp_gt_i32_e32 vcc, 0, v6
	v_cndmask_b32_e64 v4, v31, 0, vcc
	v_xor_b32_e32 v4, v4, v6
	v_and_b32_e32 v4, s19, v4
	v_cmp_le_u32_e32 vcc, v4, v26
	s_and_saveexec_b64 s[12:13], vcc
	s_cbranch_execz .LBB3_703
; %bb.696:                              ;   in Loop: Header=BB3_647 Depth=1
	s_mov_b64 s[16:17], exec
	v_mbcnt_lo_u32_b32 v4, s16, 0
	v_mbcnt_hi_u32_b32 v4, s17, v4
	v_cmp_eq_u32_e32 vcc, 0, v4
                                        ; implicit-def: $vgpr5
	s_and_saveexec_b64 s[14:15], vcc
	s_cbranch_execz .LBB3_698
; %bb.697:                              ;   in Loop: Header=BB3_647 Depth=1
	s_bcnt1_i32_b64 s16, s[16:17]
	v_mov_b32_e32 v5, s16
	global_atomic_add v5, v28, v5, s[28:29] offset:384 glc
.LBB3_698:                              ;   in Loop: Header=BB3_647 Depth=1
	s_or_b64 exec, exec, s[14:15]
	s_and_b64 vcc, exec, s[4:5]
	s_waitcnt vmcnt(0)
	v_readfirstlane_b32 s16, v5
	s_cbranch_vccnz .LBB3_700
; %bb.699:                              ;   in Loop: Header=BB3_647 Depth=1
	v_ashrrev_i32_e32 v25, 31, v24
	v_lshlrev_b64 v[32:33], 2, v[24:25]
	v_mov_b32_e32 v5, s65
	v_add_co_u32_e32 v32, vcc, s64, v32
	v_addc_co_u32_e32 v33, vcc, v5, v33, vcc
	global_load_dword v5, v[32:33], off
	s_cbranch_execz .LBB3_701
	s_branch .LBB3_702
.LBB3_700:                              ;   in Loop: Header=BB3_647 Depth=1
                                        ; implicit-def: $vgpr5
.LBB3_701:                              ;   in Loop: Header=BB3_647 Depth=1
	s_waitcnt vmcnt(0)
	v_add3_u32 v5, v24, s25, 2
.LBB3_702:                              ;   in Loop: Header=BB3_647 Depth=1
	v_add_u32_e32 v32, s16, v4
	v_ashrrev_i32_e32 v33, 31, v32
	v_lshlrev_b64 v[32:33], 2, v[32:33]
	v_mov_b32_e32 v4, s62
	v_add_co_u32_e32 v32, vcc, s33, v32
	v_addc_co_u32_e32 v33, vcc, v4, v33, vcc
	s_waitcnt vmcnt(0)
	global_store_dword v[32:33], v5, off
.LBB3_703:                              ;   in Loop: Header=BB3_647 Depth=1
	;; [unrolled: 50-line block ×3, first 2 shown]
	s_or_b64 exec, exec, s[12:13]
	s_waitcnt vmcnt(1)
	v_cmp_gt_i32_e32 vcc, 0, v8
	v_cndmask_b32_e64 v5, v31, 0, vcc
	v_xor_b32_e32 v5, v5, v8
	v_add_u32_e32 v4, s30, v21
	v_and_b32_e32 v5, s19, v5
	v_lshl_add_u32 v4, v4, 2, s36
	v_cmp_le_u32_e32 vcc, v5, v26
	s_and_saveexec_b64 s[12:13], vcc
	s_cbranch_execz .LBB3_719
; %bb.712:                              ;   in Loop: Header=BB3_647 Depth=1
	s_mov_b64 s[16:17], exec
	v_mbcnt_lo_u32_b32 v5, s16, 0
	v_mbcnt_hi_u32_b32 v6, s17, v5
	v_cmp_eq_u32_e32 vcc, 0, v6
                                        ; implicit-def: $vgpr5
	s_and_saveexec_b64 s[14:15], vcc
	s_cbranch_execz .LBB3_714
; %bb.713:                              ;   in Loop: Header=BB3_647 Depth=1
	s_bcnt1_i32_b64 s16, s[16:17]
	v_mov_b32_e32 v5, s16
	global_atomic_add v5, v28, v5, s[28:29] offset:384 glc
.LBB3_714:                              ;   in Loop: Header=BB3_647 Depth=1
	s_or_b64 exec, exec, s[14:15]
	s_and_b64 vcc, exec, s[4:5]
	s_waitcnt vmcnt(0)
	v_readfirstlane_b32 s16, v5
	s_cbranch_vccnz .LBB3_716
; %bb.715:                              ;   in Loop: Header=BB3_647 Depth=1
	v_ashrrev_i32_e32 v5, 31, v4
	v_lshlrev_b64 v[24:25], 2, v[4:5]
	v_mov_b32_e32 v5, s27
	v_add_co_u32_e32 v24, vcc, s26, v24
	v_addc_co_u32_e32 v25, vcc, v5, v25, vcc
	global_load_dword v5, v[24:25], off
	s_cbranch_execz .LBB3_717
	s_branch .LBB3_718
.LBB3_716:                              ;   in Loop: Header=BB3_647 Depth=1
                                        ; implicit-def: $vgpr5
.LBB3_717:                              ;   in Loop: Header=BB3_647 Depth=1
	s_waitcnt vmcnt(0)
	v_add_u32_e32 v5, s25, v4
.LBB3_718:                              ;   in Loop: Header=BB3_647 Depth=1
	v_add_u32_e32 v6, s16, v6
	v_ashrrev_i32_e32 v7, 31, v6
	v_lshlrev_b64 v[6:7], 2, v[6:7]
	v_mov_b32_e32 v8, s62
	v_add_co_u32_e32 v6, vcc, s33, v6
	v_addc_co_u32_e32 v7, vcc, v8, v7, vcc
	s_waitcnt vmcnt(0)
	global_store_dword v[6:7], v5, off
.LBB3_719:                              ;   in Loop: Header=BB3_647 Depth=1
	s_or_b64 exec, exec, s[12:13]
	v_cmp_gt_i32_e32 vcc, 0, v9
	v_cndmask_b32_e64 v5, v31, 0, vcc
	v_xor_b32_e32 v5, v5, v9
	v_and_b32_e32 v5, s19, v5
	v_cmp_le_u32_e32 vcc, v5, v26
	s_and_saveexec_b64 s[12:13], vcc
	s_cbranch_execz .LBB3_727
; %bb.720:                              ;   in Loop: Header=BB3_647 Depth=1
	s_mov_b64 s[16:17], exec
	v_mbcnt_lo_u32_b32 v5, s16, 0
	v_mbcnt_hi_u32_b32 v6, s17, v5
	v_cmp_eq_u32_e32 vcc, 0, v6
                                        ; implicit-def: $vgpr5
	s_and_saveexec_b64 s[14:15], vcc
	s_cbranch_execz .LBB3_722
; %bb.721:                              ;   in Loop: Header=BB3_647 Depth=1
	s_bcnt1_i32_b64 s16, s[16:17]
	v_mov_b32_e32 v5, s16
	global_atomic_add v5, v28, v5, s[28:29] offset:384 glc
.LBB3_722:                              ;   in Loop: Header=BB3_647 Depth=1
	s_or_b64 exec, exec, s[14:15]
	s_and_b64 vcc, exec, s[4:5]
	s_waitcnt vmcnt(0)
	v_readfirstlane_b32 s16, v5
	s_cbranch_vccnz .LBB3_724
; %bb.723:                              ;   in Loop: Header=BB3_647 Depth=1
	v_ashrrev_i32_e32 v5, 31, v4
	v_lshlrev_b64 v[8:9], 2, v[4:5]
	v_mov_b32_e32 v5, s37
	v_add_co_u32_e32 v8, vcc, s31, v8
	v_addc_co_u32_e32 v9, vcc, v5, v9, vcc
	global_load_dword v5, v[8:9], off
	s_cbranch_execz .LBB3_725
	s_branch .LBB3_726
.LBB3_724:                              ;   in Loop: Header=BB3_647 Depth=1
                                        ; implicit-def: $vgpr5
.LBB3_725:                              ;   in Loop: Header=BB3_647 Depth=1
	s_waitcnt vmcnt(0)
	v_add3_u32 v5, v4, s25, 1
.LBB3_726:                              ;   in Loop: Header=BB3_647 Depth=1
	v_add_u32_e32 v6, s16, v6
	v_ashrrev_i32_e32 v7, 31, v6
	v_lshlrev_b64 v[6:7], 2, v[6:7]
	v_mov_b32_e32 v8, s62
	v_add_co_u32_e32 v6, vcc, s33, v6
	v_addc_co_u32_e32 v7, vcc, v8, v7, vcc
	s_waitcnt vmcnt(0)
	global_store_dword v[6:7], v5, off
.LBB3_727:                              ;   in Loop: Header=BB3_647 Depth=1
	s_or_b64 exec, exec, s[12:13]
	v_cmp_gt_i32_e32 vcc, 0, v10
	v_cndmask_b32_e64 v5, v31, 0, vcc
	v_xor_b32_e32 v5, v5, v10
	v_and_b32_e32 v5, s19, v5
	v_cmp_le_u32_e32 vcc, v5, v26
	s_and_saveexec_b64 s[12:13], vcc
	s_cbranch_execz .LBB3_735
; %bb.728:                              ;   in Loop: Header=BB3_647 Depth=1
	s_mov_b64 s[16:17], exec
	v_mbcnt_lo_u32_b32 v5, s16, 0
	v_mbcnt_hi_u32_b32 v6, s17, v5
	v_cmp_eq_u32_e32 vcc, 0, v6
                                        ; implicit-def: $vgpr5
	s_and_saveexec_b64 s[14:15], vcc
	s_cbranch_execz .LBB3_730
; %bb.729:                              ;   in Loop: Header=BB3_647 Depth=1
	s_bcnt1_i32_b64 s16, s[16:17]
	v_mov_b32_e32 v5, s16
	global_atomic_add v5, v28, v5, s[28:29] offset:384 glc
.LBB3_730:                              ;   in Loop: Header=BB3_647 Depth=1
	s_or_b64 exec, exec, s[14:15]
	s_and_b64 vcc, exec, s[4:5]
	s_waitcnt vmcnt(0)
	v_readfirstlane_b32 s16, v5
	s_cbranch_vccnz .LBB3_732
; %bb.731:                              ;   in Loop: Header=BB3_647 Depth=1
	v_ashrrev_i32_e32 v5, 31, v4
	v_lshlrev_b64 v[8:9], 2, v[4:5]
	v_mov_b32_e32 v5, s65
	v_add_co_u32_e32 v8, vcc, s64, v8
	v_addc_co_u32_e32 v9, vcc, v5, v9, vcc
	global_load_dword v5, v[8:9], off
	s_cbranch_execz .LBB3_733
	s_branch .LBB3_734
.LBB3_732:                              ;   in Loop: Header=BB3_647 Depth=1
                                        ; implicit-def: $vgpr5
.LBB3_733:                              ;   in Loop: Header=BB3_647 Depth=1
	s_waitcnt vmcnt(0)
	v_add3_u32 v5, v4, s25, 2
.LBB3_734:                              ;   in Loop: Header=BB3_647 Depth=1
	v_add_u32_e32 v6, s16, v6
	v_ashrrev_i32_e32 v7, 31, v6
	v_lshlrev_b64 v[6:7], 2, v[6:7]
	v_mov_b32_e32 v8, s62
	v_add_co_u32_e32 v6, vcc, s33, v6
	v_addc_co_u32_e32 v7, vcc, v8, v7, vcc
	s_waitcnt vmcnt(0)
	global_store_dword v[6:7], v5, off
.LBB3_735:                              ;   in Loop: Header=BB3_647 Depth=1
	;; [unrolled: 50-line block ×3, first 2 shown]
	s_or_b64 exec, exec, s[12:13]
	s_waitcnt vmcnt(0)
	v_cmp_gt_i32_e32 vcc, 0, v0
	v_cndmask_b32_e64 v5, v31, 0, vcc
	v_xor_b32_e32 v0, v5, v0
	v_and_b32_e32 v0, s19, v0
	v_lshl_add_u32 v4, v22, 2, s36
	v_cmp_le_u32_e32 vcc, v0, v26
	s_and_saveexec_b64 s[12:13], vcc
	s_cbranch_execz .LBB3_751
; %bb.744:                              ;   in Loop: Header=BB3_647 Depth=1
	s_mov_b64 s[16:17], exec
	v_mbcnt_lo_u32_b32 v0, s16, 0
	v_mbcnt_hi_u32_b32 v0, s17, v0
	v_cmp_eq_u32_e32 vcc, 0, v0
                                        ; implicit-def: $vgpr5
	s_and_saveexec_b64 s[14:15], vcc
	s_cbranch_execz .LBB3_746
; %bb.745:                              ;   in Loop: Header=BB3_647 Depth=1
	s_bcnt1_i32_b64 s16, s[16:17]
	v_mov_b32_e32 v5, s16
	global_atomic_add v5, v28, v5, s[28:29] offset:384 glc
.LBB3_746:                              ;   in Loop: Header=BB3_647 Depth=1
	s_or_b64 exec, exec, s[14:15]
	s_and_b64 vcc, exec, s[4:5]
	s_waitcnt vmcnt(0)
	v_readfirstlane_b32 s16, v5
	s_cbranch_vccnz .LBB3_748
; %bb.747:                              ;   in Loop: Header=BB3_647 Depth=1
	v_ashrrev_i32_e32 v5, 31, v4
	v_lshlrev_b64 v[6:7], 2, v[4:5]
	v_mov_b32_e32 v5, s27
	v_add_co_u32_e32 v6, vcc, s26, v6
	v_addc_co_u32_e32 v7, vcc, v5, v7, vcc
	global_load_dword v5, v[6:7], off
	s_cbranch_execz .LBB3_749
	s_branch .LBB3_750
.LBB3_748:                              ;   in Loop: Header=BB3_647 Depth=1
                                        ; implicit-def: $vgpr5
.LBB3_749:                              ;   in Loop: Header=BB3_647 Depth=1
	s_waitcnt vmcnt(0)
	v_add_u32_e32 v5, s25, v4
.LBB3_750:                              ;   in Loop: Header=BB3_647 Depth=1
	v_add_u32_e32 v6, s16, v0
	v_ashrrev_i32_e32 v7, 31, v6
	v_lshlrev_b64 v[6:7], 2, v[6:7]
	v_mov_b32_e32 v0, s62
	v_add_co_u32_e32 v6, vcc, s33, v6
	v_addc_co_u32_e32 v7, vcc, v0, v7, vcc
	s_waitcnt vmcnt(0)
	global_store_dword v[6:7], v5, off
.LBB3_751:                              ;   in Loop: Header=BB3_647 Depth=1
	s_or_b64 exec, exec, s[12:13]
	v_cmp_gt_i32_e32 vcc, 0, v1
	v_cndmask_b32_e64 v0, v31, 0, vcc
	v_xor_b32_e32 v0, v0, v1
	v_and_b32_e32 v0, s19, v0
	v_cmp_le_u32_e32 vcc, v0, v26
	s_and_saveexec_b64 s[12:13], vcc
	s_cbranch_execz .LBB3_759
; %bb.752:                              ;   in Loop: Header=BB3_647 Depth=1
	s_mov_b64 s[16:17], exec
	v_mbcnt_lo_u32_b32 v0, s16, 0
	v_mbcnt_hi_u32_b32 v0, s17, v0
	v_cmp_eq_u32_e32 vcc, 0, v0
                                        ; implicit-def: $vgpr1
	s_and_saveexec_b64 s[14:15], vcc
	s_cbranch_execz .LBB3_754
; %bb.753:                              ;   in Loop: Header=BB3_647 Depth=1
	s_bcnt1_i32_b64 s16, s[16:17]
	v_mov_b32_e32 v1, s16
	global_atomic_add v1, v28, v1, s[28:29] offset:384 glc
.LBB3_754:                              ;   in Loop: Header=BB3_647 Depth=1
	s_or_b64 exec, exec, s[14:15]
	s_and_b64 vcc, exec, s[4:5]
	s_waitcnt vmcnt(0)
	v_readfirstlane_b32 s16, v1
	s_cbranch_vccnz .LBB3_756
; %bb.755:                              ;   in Loop: Header=BB3_647 Depth=1
	v_ashrrev_i32_e32 v5, 31, v4
	v_lshlrev_b64 v[6:7], 2, v[4:5]
	v_mov_b32_e32 v1, s37
	v_add_co_u32_e32 v6, vcc, s31, v6
	v_addc_co_u32_e32 v7, vcc, v1, v7, vcc
	global_load_dword v1, v[6:7], off
	s_cbranch_execz .LBB3_757
	s_branch .LBB3_758
.LBB3_756:                              ;   in Loop: Header=BB3_647 Depth=1
                                        ; implicit-def: $vgpr1
.LBB3_757:                              ;   in Loop: Header=BB3_647 Depth=1
	s_waitcnt vmcnt(0)
	v_add3_u32 v1, v4, s25, 1
.LBB3_758:                              ;   in Loop: Header=BB3_647 Depth=1
	v_add_u32_e32 v6, s16, v0
	v_ashrrev_i32_e32 v7, 31, v6
	v_lshlrev_b64 v[6:7], 2, v[6:7]
	v_mov_b32_e32 v0, s62
	v_add_co_u32_e32 v6, vcc, s33, v6
	v_addc_co_u32_e32 v7, vcc, v0, v7, vcc
	s_waitcnt vmcnt(0)
	global_store_dword v[6:7], v1, off
.LBB3_759:                              ;   in Loop: Header=BB3_647 Depth=1
	s_or_b64 exec, exec, s[12:13]
	v_cmp_gt_i32_e32 vcc, 0, v2
	v_cndmask_b32_e64 v0, v31, 0, vcc
	v_xor_b32_e32 v0, v0, v2
	v_and_b32_e32 v0, s19, v0
	v_cmp_le_u32_e32 vcc, v0, v26
	s_and_saveexec_b64 s[12:13], vcc
	s_cbranch_execz .LBB3_767
; %bb.760:                              ;   in Loop: Header=BB3_647 Depth=1
	s_mov_b64 s[16:17], exec
	v_mbcnt_lo_u32_b32 v0, s16, 0
	v_mbcnt_hi_u32_b32 v0, s17, v0
	v_cmp_eq_u32_e32 vcc, 0, v0
                                        ; implicit-def: $vgpr1
	s_and_saveexec_b64 s[14:15], vcc
	s_cbranch_execz .LBB3_762
; %bb.761:                              ;   in Loop: Header=BB3_647 Depth=1
	s_bcnt1_i32_b64 s16, s[16:17]
	v_mov_b32_e32 v1, s16
	global_atomic_add v1, v28, v1, s[28:29] offset:384 glc
.LBB3_762:                              ;   in Loop: Header=BB3_647 Depth=1
	s_or_b64 exec, exec, s[14:15]
	s_and_b64 vcc, exec, s[4:5]
	s_waitcnt vmcnt(0)
	v_readfirstlane_b32 s16, v1
	s_cbranch_vccnz .LBB3_764
; %bb.763:                              ;   in Loop: Header=BB3_647 Depth=1
	v_ashrrev_i32_e32 v5, 31, v4
	v_lshlrev_b64 v[6:7], 2, v[4:5]
	v_mov_b32_e32 v1, s65
	v_add_co_u32_e32 v6, vcc, s64, v6
	v_addc_co_u32_e32 v7, vcc, v1, v7, vcc
	global_load_dword v1, v[6:7], off
	s_cbranch_execz .LBB3_765
	s_branch .LBB3_766
.LBB3_764:                              ;   in Loop: Header=BB3_647 Depth=1
                                        ; implicit-def: $vgpr1
.LBB3_765:                              ;   in Loop: Header=BB3_647 Depth=1
	s_waitcnt vmcnt(0)
	v_add3_u32 v1, v4, s25, 2
.LBB3_766:                              ;   in Loop: Header=BB3_647 Depth=1
	v_add_u32_e32 v6, s16, v0
	v_ashrrev_i32_e32 v7, 31, v6
	v_lshlrev_b64 v[6:7], 2, v[6:7]
	v_mov_b32_e32 v0, s62
	v_add_co_u32_e32 v6, vcc, s33, v6
	v_addc_co_u32_e32 v7, vcc, v0, v7, vcc
	s_waitcnt vmcnt(0)
	global_store_dword v[6:7], v1, off
.LBB3_767:                              ;   in Loop: Header=BB3_647 Depth=1
	s_or_b64 exec, exec, s[12:13]
	v_cmp_gt_i32_e32 vcc, 0, v3
	v_cndmask_b32_e64 v0, v31, 0, vcc
	v_xor_b32_e32 v0, v0, v3
	v_and_b32_e32 v0, s19, v0
	v_cmp_le_u32_e32 vcc, v0, v26
	s_and_saveexec_b64 s[12:13], vcc
	s_cbranch_execz .LBB3_646
; %bb.768:                              ;   in Loop: Header=BB3_647 Depth=1
	s_mov_b64 s[16:17], exec
	v_mbcnt_lo_u32_b32 v0, s16, 0
	v_mbcnt_hi_u32_b32 v0, s17, v0
	v_cmp_eq_u32_e32 vcc, 0, v0
                                        ; implicit-def: $vgpr1
	s_and_saveexec_b64 s[14:15], vcc
	s_cbranch_execz .LBB3_770
; %bb.769:                              ;   in Loop: Header=BB3_647 Depth=1
	s_bcnt1_i32_b64 s16, s[16:17]
	v_mov_b32_e32 v1, s16
	global_atomic_add v1, v28, v1, s[28:29] offset:384 glc
.LBB3_770:                              ;   in Loop: Header=BB3_647 Depth=1
	s_or_b64 exec, exec, s[14:15]
	s_and_b64 vcc, exec, s[4:5]
	s_waitcnt vmcnt(0)
	v_readfirstlane_b32 s16, v1
	s_cbranch_vccnz .LBB3_772
; %bb.771:                              ;   in Loop: Header=BB3_647 Depth=1
	v_ashrrev_i32_e32 v5, 31, v4
	v_lshlrev_b64 v[2:3], 2, v[4:5]
	v_mov_b32_e32 v1, s67
	v_add_co_u32_e32 v2, vcc, s66, v2
	v_addc_co_u32_e32 v3, vcc, v1, v3, vcc
	global_load_dword v1, v[2:3], off
	s_cbranch_execnz .LBB3_645
	s_branch .LBB3_644
.LBB3_772:                              ;   in Loop: Header=BB3_647 Depth=1
                                        ; implicit-def: $vgpr1
	s_branch .LBB3_644
.LBB3_773:
	s_or_b64 exec, exec, s[8:9]
	v_mov_b32_e32 v24, v20
.LBB3_774:
	s_or_b64 exec, exec, s[10:11]
	v_cmp_gt_i32_e32 vcc, s34, v24
	s_and_saveexec_b64 s[8:9], vcc
	s_cbranch_execz .LBB3_809
; %bb.775:
	v_cndmask_b32_e64 v0, 0, 1, s[6:7]
	s_lshl_b32 s19, -1, s18
	v_lshl_add_u32 v4, v24, 2, s36
	s_mov_b64 s[10:11], 0
	v_mov_b32_e32 v6, s68
	v_bfrev_b32_e32 v7, -2
	v_mov_b32_e32 v8, 0
	v_cmp_ne_u32_e64 s[4:5], 1, v0
	s_branch .LBB3_779
.LBB3_776:                              ;   in Loop: Header=BB3_779 Depth=1
	s_waitcnt vmcnt(0)
	v_add3_u32 v1, s25, v4, 3
.LBB3_777:                              ;   in Loop: Header=BB3_779 Depth=1
	v_add_u32_e32 v2, s16, v0
	v_ashrrev_i32_e32 v3, 31, v2
	v_lshlrev_b64 v[2:3], 2, v[2:3]
	v_mov_b32_e32 v0, s62
	v_add_co_u32_e32 v2, vcc, s33, v2
	v_addc_co_u32_e32 v3, vcc, v0, v3, vcc
	s_waitcnt vmcnt(0)
	global_store_dword v[2:3], v1, off
.LBB3_778:                              ;   in Loop: Header=BB3_779 Depth=1
	s_or_b64 exec, exec, s[12:13]
	v_add_u32_e32 v24, s30, v24
	v_cmp_le_i32_e32 vcc, s34, v24
	s_or_b64 s[10:11], vcc, s[10:11]
	v_add_u32_e32 v4, s63, v4
	s_andn2_b64 exec, exec, s[10:11]
	s_cbranch_execz .LBB3_809
.LBB3_779:                              ; =>This Inner Loop Header: Depth=1
	v_ashrrev_i32_e32 v25, 31, v24
	v_lshlrev_b64 v[0:1], 4, v[24:25]
	v_add_co_u32_e32 v0, vcc, s24, v0
	v_addc_co_u32_e32 v1, vcc, v6, v1, vcc
	global_load_dwordx4 v[0:3], v[0:1], off
	s_waitcnt vmcnt(0)
	v_cmp_gt_i32_e32 vcc, 0, v0
	v_cndmask_b32_e64 v5, v7, 0, vcc
	v_xor_b32_e32 v0, v5, v0
	v_and_b32_e32 v0, s19, v0
	s_waitcnt lgkmcnt(0)
	v_cmp_le_u32_e32 vcc, v0, v26
	s_and_saveexec_b64 s[12:13], vcc
	s_cbranch_execz .LBB3_787
; %bb.780:                              ;   in Loop: Header=BB3_779 Depth=1
	s_mov_b64 s[16:17], exec
	v_mbcnt_lo_u32_b32 v0, s16, 0
	v_mbcnt_hi_u32_b32 v0, s17, v0
	v_cmp_eq_u32_e32 vcc, 0, v0
                                        ; implicit-def: $vgpr5
	s_and_saveexec_b64 s[14:15], vcc
	s_cbranch_execz .LBB3_782
; %bb.781:                              ;   in Loop: Header=BB3_779 Depth=1
	s_bcnt1_i32_b64 s16, s[16:17]
	v_mov_b32_e32 v5, s16
	global_atomic_add v5, v8, v5, s[28:29] offset:384 glc
.LBB3_782:                              ;   in Loop: Header=BB3_779 Depth=1
	s_or_b64 exec, exec, s[14:15]
	s_and_b64 vcc, exec, s[4:5]
	s_waitcnt vmcnt(0)
	v_readfirstlane_b32 s16, v5
	s_cbranch_vccnz .LBB3_784
; %bb.783:                              ;   in Loop: Header=BB3_779 Depth=1
	v_ashrrev_i32_e32 v5, 31, v4
	v_lshlrev_b64 v[10:11], 2, v[4:5]
	v_mov_b32_e32 v5, s27
	v_add_co_u32_e32 v10, vcc, s26, v10
	v_addc_co_u32_e32 v11, vcc, v5, v11, vcc
	global_load_dword v5, v[10:11], off
	s_cbranch_execz .LBB3_785
	s_branch .LBB3_786
.LBB3_784:                              ;   in Loop: Header=BB3_779 Depth=1
                                        ; implicit-def: $vgpr5
.LBB3_785:                              ;   in Loop: Header=BB3_779 Depth=1
	s_waitcnt vmcnt(0)
	v_add_u32_e32 v5, s25, v4
.LBB3_786:                              ;   in Loop: Header=BB3_779 Depth=1
	v_add_u32_e32 v10, s16, v0
	v_ashrrev_i32_e32 v11, 31, v10
	v_lshlrev_b64 v[10:11], 2, v[10:11]
	v_mov_b32_e32 v0, s62
	v_add_co_u32_e32 v10, vcc, s33, v10
	v_addc_co_u32_e32 v11, vcc, v0, v11, vcc
	s_waitcnt vmcnt(0)
	global_store_dword v[10:11], v5, off
.LBB3_787:                              ;   in Loop: Header=BB3_779 Depth=1
	s_or_b64 exec, exec, s[12:13]
	v_cmp_gt_i32_e32 vcc, 0, v1
	v_cndmask_b32_e64 v0, v7, 0, vcc
	v_xor_b32_e32 v0, v0, v1
	v_and_b32_e32 v0, s19, v0
	v_cmp_le_u32_e32 vcc, v0, v26
	s_and_saveexec_b64 s[12:13], vcc
	s_cbranch_execz .LBB3_795
; %bb.788:                              ;   in Loop: Header=BB3_779 Depth=1
	s_mov_b64 s[16:17], exec
	v_mbcnt_lo_u32_b32 v0, s16, 0
	v_mbcnt_hi_u32_b32 v0, s17, v0
	v_cmp_eq_u32_e32 vcc, 0, v0
                                        ; implicit-def: $vgpr1
	s_and_saveexec_b64 s[14:15], vcc
	s_cbranch_execz .LBB3_790
; %bb.789:                              ;   in Loop: Header=BB3_779 Depth=1
	s_bcnt1_i32_b64 s16, s[16:17]
	v_mov_b32_e32 v1, s16
	global_atomic_add v1, v8, v1, s[28:29] offset:384 glc
.LBB3_790:                              ;   in Loop: Header=BB3_779 Depth=1
	s_or_b64 exec, exec, s[14:15]
	s_and_b64 vcc, exec, s[4:5]
	s_waitcnt vmcnt(0)
	v_readfirstlane_b32 s16, v1
	s_cbranch_vccnz .LBB3_792
; %bb.791:                              ;   in Loop: Header=BB3_779 Depth=1
	v_ashrrev_i32_e32 v5, 31, v4
	v_lshlrev_b64 v[10:11], 2, v[4:5]
	v_mov_b32_e32 v1, s37
	v_add_co_u32_e32 v10, vcc, s31, v10
	v_addc_co_u32_e32 v11, vcc, v1, v11, vcc
	global_load_dword v1, v[10:11], off
	s_cbranch_execz .LBB3_793
	s_branch .LBB3_794
.LBB3_792:                              ;   in Loop: Header=BB3_779 Depth=1
                                        ; implicit-def: $vgpr1
.LBB3_793:                              ;   in Loop: Header=BB3_779 Depth=1
	s_waitcnt vmcnt(0)
	v_add3_u32 v1, s25, v4, 1
.LBB3_794:                              ;   in Loop: Header=BB3_779 Depth=1
	v_add_u32_e32 v10, s16, v0
	v_ashrrev_i32_e32 v11, 31, v10
	v_lshlrev_b64 v[10:11], 2, v[10:11]
	v_mov_b32_e32 v0, s62
	v_add_co_u32_e32 v10, vcc, s33, v10
	v_addc_co_u32_e32 v11, vcc, v0, v11, vcc
	s_waitcnt vmcnt(0)
	global_store_dword v[10:11], v1, off
.LBB3_795:                              ;   in Loop: Header=BB3_779 Depth=1
	s_or_b64 exec, exec, s[12:13]
	v_cmp_gt_i32_e32 vcc, 0, v2
	v_cndmask_b32_e64 v0, v7, 0, vcc
	v_xor_b32_e32 v0, v0, v2
	v_and_b32_e32 v0, s19, v0
	v_cmp_le_u32_e32 vcc, v0, v26
	s_and_saveexec_b64 s[12:13], vcc
	s_cbranch_execz .LBB3_803
; %bb.796:                              ;   in Loop: Header=BB3_779 Depth=1
	s_mov_b64 s[16:17], exec
	v_mbcnt_lo_u32_b32 v0, s16, 0
	v_mbcnt_hi_u32_b32 v0, s17, v0
	v_cmp_eq_u32_e32 vcc, 0, v0
                                        ; implicit-def: $vgpr1
	s_and_saveexec_b64 s[14:15], vcc
	s_cbranch_execz .LBB3_798
; %bb.797:                              ;   in Loop: Header=BB3_779 Depth=1
	s_bcnt1_i32_b64 s16, s[16:17]
	v_mov_b32_e32 v1, s16
	global_atomic_add v1, v8, v1, s[28:29] offset:384 glc
.LBB3_798:                              ;   in Loop: Header=BB3_779 Depth=1
	s_or_b64 exec, exec, s[14:15]
	s_and_b64 vcc, exec, s[4:5]
	s_waitcnt vmcnt(0)
	v_readfirstlane_b32 s16, v1
	s_cbranch_vccnz .LBB3_800
; %bb.799:                              ;   in Loop: Header=BB3_779 Depth=1
	v_ashrrev_i32_e32 v5, 31, v4
	v_lshlrev_b64 v[10:11], 2, v[4:5]
	v_mov_b32_e32 v1, s65
	v_add_co_u32_e32 v10, vcc, s64, v10
	v_addc_co_u32_e32 v11, vcc, v1, v11, vcc
	global_load_dword v1, v[10:11], off
	s_cbranch_execz .LBB3_801
	s_branch .LBB3_802
.LBB3_800:                              ;   in Loop: Header=BB3_779 Depth=1
                                        ; implicit-def: $vgpr1
.LBB3_801:                              ;   in Loop: Header=BB3_779 Depth=1
	s_waitcnt vmcnt(0)
	v_add3_u32 v1, s25, v4, 2
.LBB3_802:                              ;   in Loop: Header=BB3_779 Depth=1
	v_add_u32_e32 v10, s16, v0
	v_ashrrev_i32_e32 v11, 31, v10
	v_lshlrev_b64 v[10:11], 2, v[10:11]
	v_mov_b32_e32 v0, s62
	v_add_co_u32_e32 v10, vcc, s33, v10
	v_addc_co_u32_e32 v11, vcc, v0, v11, vcc
	s_waitcnt vmcnt(0)
	global_store_dword v[10:11], v1, off
.LBB3_803:                              ;   in Loop: Header=BB3_779 Depth=1
	s_or_b64 exec, exec, s[12:13]
	v_cmp_gt_i32_e32 vcc, 0, v3
	v_cndmask_b32_e64 v0, v7, 0, vcc
	v_xor_b32_e32 v0, v0, v3
	v_and_b32_e32 v0, s19, v0
	v_cmp_le_u32_e32 vcc, v0, v26
	s_and_saveexec_b64 s[12:13], vcc
	s_cbranch_execz .LBB3_778
; %bb.804:                              ;   in Loop: Header=BB3_779 Depth=1
	s_mov_b64 s[16:17], exec
	v_mbcnt_lo_u32_b32 v0, s16, 0
	v_mbcnt_hi_u32_b32 v0, s17, v0
	v_cmp_eq_u32_e32 vcc, 0, v0
                                        ; implicit-def: $vgpr1
	s_and_saveexec_b64 s[14:15], vcc
	s_cbranch_execz .LBB3_806
; %bb.805:                              ;   in Loop: Header=BB3_779 Depth=1
	s_bcnt1_i32_b64 s16, s[16:17]
	v_mov_b32_e32 v1, s16
	global_atomic_add v1, v8, v1, s[28:29] offset:384 glc
.LBB3_806:                              ;   in Loop: Header=BB3_779 Depth=1
	s_or_b64 exec, exec, s[14:15]
	s_and_b64 vcc, exec, s[4:5]
	s_waitcnt vmcnt(0)
	v_readfirstlane_b32 s16, v1
	s_cbranch_vccnz .LBB3_808
; %bb.807:                              ;   in Loop: Header=BB3_779 Depth=1
	v_ashrrev_i32_e32 v5, 31, v4
	v_lshlrev_b64 v[2:3], 2, v[4:5]
	v_mov_b32_e32 v1, s67
	v_add_co_u32_e32 v2, vcc, s66, v2
	v_addc_co_u32_e32 v3, vcc, v1, v3, vcc
	global_load_dword v1, v[2:3], off
	s_cbranch_execnz .LBB3_777
	s_branch .LBB3_776
.LBB3_808:                              ;   in Loop: Header=BB3_779 Depth=1
                                        ; implicit-def: $vgpr1
	s_branch .LBB3_776
.LBB3_809:
	s_or_b64 exec, exec, s[8:9]
	s_and_saveexec_b64 s[4:5], s[2:3]
	s_cbranch_execz .LBB3_816
; %bb.810:
	global_load_dword v0, v[16:17], off
	v_bfrev_b32_e32 v1, -2
	s_lshl_b32 s2, -1, s18
	s_waitcnt vmcnt(0)
	v_cmp_gt_i32_e32 vcc, 0, v0
	v_cndmask_b32_e64 v1, v1, 0, vcc
	v_xor_b32_e32 v0, v1, v0
	v_and_b32_e32 v0, s2, v0
	s_waitcnt lgkmcnt(0)
	v_cmp_le_u32_e32 vcc, v0, v26
	s_and_b64 exec, exec, vcc
	s_cbranch_execz .LBB3_816
; %bb.811:
	s_mov_b64 s[8:9], exec
	v_mbcnt_lo_u32_b32 v0, s8, 0
	v_mbcnt_hi_u32_b32 v0, s9, v0
	v_cmp_eq_u32_e32 vcc, 0, v0
                                        ; implicit-def: $vgpr1
	s_and_saveexec_b64 s[2:3], vcc
	s_cbranch_execz .LBB3_813
; %bb.812:
	s_bcnt1_i32_b64 s8, s[8:9]
	v_mov_b32_e32 v1, 0
	v_mov_b32_e32 v2, s8
	global_atomic_add v1, v1, v2, s[28:29] offset:384 glc
.LBB3_813:
	s_or_b64 exec, exec, s[2:3]
	s_andn2_b64 vcc, exec, s[6:7]
	s_waitcnt vmcnt(0)
	v_readfirstlane_b32 s2, v1
	s_cbranch_vccnz .LBB3_815
; %bb.814:
	global_load_dword v50, v[18:19], off
.LBB3_815:
	v_add_u32_e32 v0, s2, v0
	v_ashrrev_i32_e32 v1, 31, v0
	v_lshlrev_b64 v[0:1], 2, v[0:1]
	v_mov_b32_e32 v2, s62
	v_add_co_u32_e32 v0, vcc, s33, v0
	v_addc_co_u32_e32 v1, vcc, v2, v1, vcc
	s_waitcnt vmcnt(0)
	global_store_dword v[0:1], v50, off
.LBB3_816:
	s_or_b64 exec, exec, s[4:5]
	s_and_saveexec_b64 s[2:3], s[0:1]
	s_cbranch_execz .LBB3_823
; %bb.817:
	global_load_dword v0, v[12:13], off
	v_bfrev_b32_e32 v1, -2
	s_lshl_b32 s0, -1, s18
	s_waitcnt vmcnt(0)
	v_cmp_gt_i32_e32 vcc, 0, v0
	v_cndmask_b32_e64 v1, v1, 0, vcc
	v_xor_b32_e32 v0, v1, v0
	v_and_b32_e32 v0, s0, v0
	s_waitcnt lgkmcnt(0)
	v_cmp_le_u32_e32 vcc, v0, v26
	s_and_b64 exec, exec, vcc
	s_cbranch_execz .LBB3_823
; %bb.818:
	s_mov_b64 s[2:3], exec
	v_mbcnt_lo_u32_b32 v0, s2, 0
	v_mbcnt_hi_u32_b32 v0, s3, v0
	v_cmp_eq_u32_e32 vcc, 0, v0
                                        ; implicit-def: $vgpr1
	s_and_saveexec_b64 s[0:1], vcc
	s_cbranch_execz .LBB3_820
; %bb.819:
	s_bcnt1_i32_b64 s2, s[2:3]
	v_mov_b32_e32 v1, 0
	v_mov_b32_e32 v2, s2
	global_atomic_add v1, v1, v2, s[28:29] offset:384 glc
.LBB3_820:
	s_or_b64 exec, exec, s[0:1]
	s_andn2_b64 vcc, exec, s[6:7]
	s_waitcnt vmcnt(0)
	v_readfirstlane_b32 s0, v1
	s_cbranch_vccnz .LBB3_822
; %bb.821:
	global_load_dword v27, v[14:15], off
.LBB3_822:
	v_add_u32_e32 v0, s0, v0
	v_ashrrev_i32_e32 v1, 31, v0
	v_lshlrev_b64 v[0:1], 2, v[0:1]
	v_mov_b32_e32 v2, s62
	v_add_co_u32_e32 v0, vcc, s33, v0
	v_addc_co_u32_e32 v1, vcc, v2, v1, vcc
	s_waitcnt vmcnt(0)
	global_store_dword v[0:1], v27, off
.LBB3_823:
	s_endpgm
	.section	.rodata,"a",@progbits
	.p2align	6, 0x0
	.amdhsa_kernel _ZN5aiter2mb23radix_kernel_persistentIfiLi11ELi1024ELb0ELb0ELNS0_5PhaseE0EEEvPKT_PKT0_PS3_PS6_PNS0_7CounterIS3_S6_EESA_S6_S8_S8_S6_S6_b
		.amdhsa_group_segment_fixed_size 16912
		.amdhsa_private_segment_fixed_size 0
		.amdhsa_kernarg_size 344
		.amdhsa_user_sgpr_count 6
		.amdhsa_user_sgpr_private_segment_buffer 1
		.amdhsa_user_sgpr_dispatch_ptr 0
		.amdhsa_user_sgpr_queue_ptr 0
		.amdhsa_user_sgpr_kernarg_segment_ptr 1
		.amdhsa_user_sgpr_dispatch_id 0
		.amdhsa_user_sgpr_flat_scratch_init 0
		.amdhsa_user_sgpr_kernarg_preload_length 0
		.amdhsa_user_sgpr_kernarg_preload_offset 0
		.amdhsa_user_sgpr_private_segment_size 0
		.amdhsa_uses_dynamic_stack 0
		.amdhsa_system_sgpr_private_segment_wavefront_offset 0
		.amdhsa_system_sgpr_workgroup_id_x 1
		.amdhsa_system_sgpr_workgroup_id_y 1
		.amdhsa_system_sgpr_workgroup_id_z 0
		.amdhsa_system_sgpr_workgroup_info 0
		.amdhsa_system_vgpr_workitem_id 2
		.amdhsa_next_free_vgpr 66
		.amdhsa_next_free_sgpr 93
		.amdhsa_accum_offset 68
		.amdhsa_reserve_vcc 1
		.amdhsa_reserve_flat_scratch 0
		.amdhsa_float_round_mode_32 0
		.amdhsa_float_round_mode_16_64 0
		.amdhsa_float_denorm_mode_32 3
		.amdhsa_float_denorm_mode_16_64 3
		.amdhsa_dx10_clamp 1
		.amdhsa_ieee_mode 1
		.amdhsa_fp16_overflow 0
		.amdhsa_tg_split 0
		.amdhsa_exception_fp_ieee_invalid_op 0
		.amdhsa_exception_fp_denorm_src 0
		.amdhsa_exception_fp_ieee_div_zero 0
		.amdhsa_exception_fp_ieee_overflow 0
		.amdhsa_exception_fp_ieee_underflow 0
		.amdhsa_exception_fp_ieee_inexact 0
		.amdhsa_exception_int_div_zero 0
	.end_amdhsa_kernel
	.section	.text._ZN5aiter2mb23radix_kernel_persistentIfiLi11ELi1024ELb0ELb0ELNS0_5PhaseE0EEEvPKT_PKT0_PS3_PS6_PNS0_7CounterIS3_S6_EESA_S6_S8_S8_S6_S6_b,"axG",@progbits,_ZN5aiter2mb23radix_kernel_persistentIfiLi11ELi1024ELb0ELb0ELNS0_5PhaseE0EEEvPKT_PKT0_PS3_PS6_PNS0_7CounterIS3_S6_EESA_S6_S8_S8_S6_S6_b,comdat
.Lfunc_end3:
	.size	_ZN5aiter2mb23radix_kernel_persistentIfiLi11ELi1024ELb0ELb0ELNS0_5PhaseE0EEEvPKT_PKT0_PS3_PS6_PNS0_7CounterIS3_S6_EESA_S6_S8_S8_S6_S6_b, .Lfunc_end3-_ZN5aiter2mb23radix_kernel_persistentIfiLi11ELi1024ELb0ELb0ELNS0_5PhaseE0EEEvPKT_PKT0_PS3_PS6_PNS0_7CounterIS3_S6_EESA_S6_S8_S8_S6_S6_b
                                        ; -- End function
	.section	.AMDGPU.csdata,"",@progbits
; Kernel info:
; codeLenInByte = 21696
; NumSgprs: 97
; NumVgprs: 66
; NumAgprs: 0
; TotalNumVgprs: 66
; ScratchSize: 0
; MemoryBound: 0
; FloatMode: 240
; IeeeMode: 1
; LDSByteSize: 16912 bytes/workgroup (compile time only)
; SGPRBlocks: 12
; VGPRBlocks: 8
; NumSGPRsForWavesPerEU: 97
; NumVGPRsForWavesPerEU: 66
; AccumOffset: 68
; Occupancy: 7
; WaveLimiterHint : 0
; COMPUTE_PGM_RSRC2:SCRATCH_EN: 0
; COMPUTE_PGM_RSRC2:USER_SGPR: 6
; COMPUTE_PGM_RSRC2:TRAP_HANDLER: 0
; COMPUTE_PGM_RSRC2:TGID_X_EN: 1
; COMPUTE_PGM_RSRC2:TGID_Y_EN: 1
; COMPUTE_PGM_RSRC2:TGID_Z_EN: 0
; COMPUTE_PGM_RSRC2:TIDIG_COMP_CNT: 2
; COMPUTE_PGM_RSRC3_GFX90A:ACCUM_OFFSET: 16
; COMPUTE_PGM_RSRC3_GFX90A:TG_SPLIT: 0
	.section	.text._ZN5aiter2mb23radix_kernel_persistentIfiLi10ELi1024ELb0ELb0ELNS0_5PhaseE0EEEvPKT_PKT0_PS3_PS6_PNS0_7CounterIS3_S6_EESA_S6_S8_S8_S6_S6_b,"axG",@progbits,_ZN5aiter2mb23radix_kernel_persistentIfiLi10ELi1024ELb0ELb0ELNS0_5PhaseE0EEEvPKT_PKT0_PS3_PS6_PNS0_7CounterIS3_S6_EESA_S6_S8_S8_S6_S6_b,comdat
	.protected	_ZN5aiter2mb23radix_kernel_persistentIfiLi10ELi1024ELb0ELb0ELNS0_5PhaseE0EEEvPKT_PKT0_PS3_PS6_PNS0_7CounterIS3_S6_EESA_S6_S8_S8_S6_S6_b ; -- Begin function _ZN5aiter2mb23radix_kernel_persistentIfiLi10ELi1024ELb0ELb0ELNS0_5PhaseE0EEEvPKT_PKT0_PS3_PS6_PNS0_7CounterIS3_S6_EESA_S6_S8_S8_S6_S6_b
	.globl	_ZN5aiter2mb23radix_kernel_persistentIfiLi10ELi1024ELb0ELb0ELNS0_5PhaseE0EEEvPKT_PKT0_PS3_PS6_PNS0_7CounterIS3_S6_EESA_S6_S8_S8_S6_S6_b
	.p2align	8
	.type	_ZN5aiter2mb23radix_kernel_persistentIfiLi10ELi1024ELb0ELb0ELNS0_5PhaseE0EEEvPKT_PKT0_PS3_PS6_PNS0_7CounterIS3_S6_EESA_S6_S8_S8_S6_S6_b,@function
_ZN5aiter2mb23radix_kernel_persistentIfiLi10ELi1024ELb0ELb0ELNS0_5PhaseE0EEEvPKT_PKT0_PS3_PS6_PNS0_7CounterIS3_S6_EESA_S6_S8_S8_S6_S6_b: ; @_ZN5aiter2mb23radix_kernel_persistentIfiLi10ELi1024ELb0ELb0ELNS0_5PhaseE0EEEvPKT_PKT0_PS3_PS6_PNS0_7CounterIS3_S6_EESA_S6_S8_S8_S6_S6_b
; %bb.0:
	s_load_dwordx4 s[0:3], s[4:5], 0x38
	s_load_dword s14, s[4:5], 0x30
	s_mov_b32 s20, 0
	s_mov_b32 s12, s7
	;; [unrolled: 1-line block ×3, first 2 shown]
	s_waitcnt lgkmcnt(0)
	s_cmp_lg_u64 s[0:1], 0
	s_cselect_b64 s[8:9], -1, 0
	s_cmp_eq_u64 s[0:1], 0
	s_cselect_b64 s[10:11], -1, 0
	s_cmp_eq_u64 s[2:3], 0
	s_cselect_b64 s[16:17], -1, 0
	s_or_b64 s[10:11], s[10:11], s[16:17]
	s_and_b64 vcc, exec, s[10:11]
	s_mov_b32 s7, s14
	s_cbranch_vccnz .LBB4_2
; %bb.1:
	s_lshl_b64 s[10:11], s[12:13], 2
	s_add_u32 s16, s0, s10
	s_addc_u32 s17, s1, s11
	s_add_u32 s2, s2, s10
	s_addc_u32 s3, s3, s11
	s_load_dword s7, s[2:3], 0x0
	s_load_dword s10, s[16:17], 0x0
	s_waitcnt lgkmcnt(0)
	s_sub_i32 s7, s7, s10
.LBB4_2:
	s_andn2_b64 vcc, exec, s[8:9]
	s_cbranch_vccnz .LBB4_4
; %bb.3:
	s_lshl_b64 s[2:3], s[12:13], 2
	s_add_u32 s0, s0, s2
	s_addc_u32 s1, s1, s3
	s_load_dword s20, s[0:1], 0x0
.LBB4_4:
	s_load_dword s69, s[4:5], 0x48
	s_load_dword s24, s[4:5], 0x64
	s_add_u32 s38, s4, 0x58
	v_and_b32_e32 v26, 0x3ff, v0
	s_addc_u32 s39, s5, 0
	v_cmp_eq_u32_e64 s[18:19], 0, v26
	s_and_saveexec_b64 s[0:1], s[18:19]
	s_cbranch_execz .LBB4_6
; %bb.5:
	v_mov_b32_e32 v2, 0
	s_waitcnt lgkmcnt(0)
	v_mov_b32_e32 v3, s69
	v_mov_b32_e32 v4, s7
	ds_write_b96 v2, v[2:4] offset:8576
.LBB4_6:
	s_or_b64 exec, exec, s[0:1]
	s_load_dword s75, s[4:5], 0x58
	s_load_dwordx4 s[8:11], s[4:5], 0x0
	s_load_dwordx4 s[0:3], s[4:5], 0x18
	s_ashr_i32 s15, s14, 31
	s_mul_hi_u32 s16, s14, s12
	s_mul_i32 s15, s15, s12
	s_add_i32 s15, s16, s15
	s_mul_i32 s14, s14, s12
	s_waitcnt lgkmcnt(0)
	s_ashr_i32 s21, s20, 31
	s_lshl_b64 s[14:15], s[14:15], 2
	s_add_u32 s22, s10, s14
	s_addc_u32 s23, s11, s15
	s_lshl_b64 s[16:17], s[20:21], 2
	s_add_u32 s21, s22, s16
	s_addc_u32 s22, s23, s17
	s_cmp_lg_u64 s[10:11], 0
	s_cselect_b32 s23, s22, 0
	s_cselect_b32 s22, s21, 0
	s_ashr_i32 s10, s69, 31
	s_mul_hi_u32 s11, s69, s12
	s_mul_i32 s10, s10, s12
	s_add_i32 s11, s11, s10
	s_mul_i32 s10, s69, s12
	s_lshl_b64 s[10:11], s[10:11], 2
	s_add_u32 s21, s0, s10
	s_addc_u32 s33, s1, s11
	s_and_b32 s70, 0xffff, s24
	s_cmp_le_i32 s7, s69
	s_mov_b64 s[0:1], -1
	s_barrier
	s_cbranch_scc0 .LBB4_16
; %bb.7:
	s_cmp_eq_u32 s6, 0
	s_cselect_b64 s[0:1], -1, 0
	v_cmp_gt_i32_e32 vcc, s69, v26
	s_and_b64 s[0:1], s[0:1], vcc
	s_and_saveexec_b64 s[10:11], s[0:1]
	s_cbranch_execz .LBB4_15
; %bb.8:
	s_cmp_lg_u64 s[22:23], 0
	s_cselect_b64 s[0:1], -1, 0
	v_cndmask_b32_e64 v1, 0, 1, s[0:1]
	s_mov_b64 s[24:25], 0
	v_cmp_ne_u32_e64 s[0:1], 1, v1
	v_mov_b32_e32 v1, s33
	v_mov_b32_e32 v2, v26
	s_branch .LBB4_11
.LBB4_9:                                ;   in Loop: Header=BB4_11 Depth=1
	s_waitcnt vmcnt(0)
	v_add_u32_e32 v4, s20, v2
.LBB4_10:                               ;   in Loop: Header=BB4_11 Depth=1
	s_or_b64 exec, exec, s[26:27]
	v_ashrrev_i32_e32 v3, 31, v2
	v_lshlrev_b64 v[6:7], 2, v[2:3]
	v_add_co_u32_e32 v6, vcc, s21, v6
	v_addc_co_u32_e32 v7, vcc, v1, v7, vcc
	v_add_u32_e32 v2, s70, v2
	v_cmp_le_i32_e32 vcc, s69, v2
	s_or_b64 s[24:25], vcc, s[24:25]
	s_waitcnt vmcnt(0)
	global_store_dword v[6:7], v4, off
	s_andn2_b64 exec, exec, s[24:25]
	s_cbranch_execz .LBB4_15
.LBB4_11:                               ; =>This Inner Loop Header: Depth=1
	v_cmp_gt_i32_e32 vcc, s7, v2
	v_mov_b32_e32 v4, -1
	s_and_saveexec_b64 s[26:27], vcc
	s_cbranch_execz .LBB4_10
; %bb.12:                               ;   in Loop: Header=BB4_11 Depth=1
	s_and_b64 vcc, exec, s[0:1]
	s_cbranch_vccnz .LBB4_14
; %bb.13:                               ;   in Loop: Header=BB4_11 Depth=1
	v_ashrrev_i32_e32 v3, 31, v2
	v_lshlrev_b64 v[4:5], 2, v[2:3]
	v_mov_b32_e32 v3, s23
	v_add_co_u32_e32 v4, vcc, s22, v4
	v_addc_co_u32_e32 v5, vcc, v3, v5, vcc
	global_load_dword v4, v[4:5], off
	s_cbranch_execnz .LBB4_10
	s_branch .LBB4_9
.LBB4_14:                               ;   in Loop: Header=BB4_11 Depth=1
                                        ; implicit-def: $vgpr4
	s_branch .LBB4_9
.LBB4_15:
	s_or_b64 exec, exec, s[10:11]
	s_mov_b64 s[0:1], 0
.LBB4_16:
	s_andn2_b64 vcc, exec, s[0:1]
	s_cbranch_vccnz .LBB4_821
; %bb.17:
	s_load_dwordx2 s[0:1], s[4:5], 0x28
	s_mul_i32 s5, s12, 0x300
	s_mul_hi_u32 s4, s12, 0x300
	s_add_u32 s24, s2, s5
	s_addc_u32 s25, s3, s4
	s_lshl_b64 s[2:3], s[12:13], 14
	s_waitcnt lgkmcnt(0)
	s_add_u32 s40, s0, s2
	s_addc_u32 s41, s1, s3
	s_add_u32 s0, s8, s14
	s_addc_u32 s1, s9, s15
	v_mov_b32_e32 v29, 0
	s_add_u32 s8, s0, s16
	v_mov_b32_e32 v27, v29
	v_mov_b32_e32 v1, s6
	s_addc_u32 s9, s1, s17
	v_mad_u64_u32 v[24:25], s[0:1], s70, v1, v[26:27]
	s_and_b32 s42, s8, 15
	s_sub_i32 s0, 16, s42
	s_mov_b32 s43, 0
	s_lshr_b32 s0, s0, 2
	s_cmp_lg_u64 s[42:43], 0
	s_cselect_b32 s0, s0, 0
	s_min_i32 s34, s0, s7
	s_ashr_i32 s35, s34, 31
	s_lshl_b64 s[0:1], s[34:35], 2
	s_add_u32 s60, s8, s0
	s_addc_u32 s66, s9, s1
	s_sub_i32 s0, s7, s34
	s_ashr_i32 s1, s0, 31
	s_lshr_b32 s1, s1, 30
	s_mul_hi_u32 s29, s70, s75
	s_mul_i32 s28, s70, s75
	s_add_i32 s10, s0, s1
	s_ashr_i32 s30, s10, 2
	s_mul_i32 s2, s29, 3
	s_mul_hi_u32 s0, s28, 3
	s_lshl_b32 s61, s28, 2
	s_add_i32 s67, s0, s2
	s_ashr_i32 s31, s30, 31
	s_lshl_b64 s[36:37], s[28:29], 4
	s_add_u32 s71, s60, s36
	s_addc_u32 s72, s66, s37
	v_ashrrev_i32_e32 v21, 31, v24
	v_mov_b32_e32 v20, v24
	v_mad_u64_u32 v[22:23], s[0:1], s28, 3, v[20:21]
	s_add_u32 s73, s71, s36
	s_addc_u32 s74, s72, s37
	s_and_b32 s0, s10, -4
	v_lshlrev_b64 v[4:5], 2, v[24:25]
	s_add_i32 s0, s0, s34
	v_mov_b32_e32 v1, s9
	v_add_co_u32_e32 v16, vcc, s8, v4
	v_add_u32_e32 v4, s0, v24
	v_addc_co_u32_e32 v17, vcc, v1, v5, vcc
	v_ashrrev_i32_e32 v5, 31, v4
	v_add_u32_e32 v23, s2, v23
	v_cmp_gt_u64_e64 s[2:3], s[34:35], v[24:25]
	v_lshlrev_b64 v[6:7], 2, v[4:5]
	v_bfe_u32 v25, v0, 20, 10
	v_bfe_u32 v49, v0, 10, 10
	v_lshrrev_b32_e32 v0, 3, v26
	v_add_co_u32_e32 v14, vcc, s8, v6
	v_lshlrev_b32_e32 v30, 2, v26
	v_and_b32_e32 v0, 0x7c, v0
	v_addc_co_u32_e32 v15, vcc, v1, v7, vcc
	v_add_u32_e32 v50, v30, v0
	v_lshlrev_b32_e32 v0, 4, v26
	v_lshrrev_b32_e32 v1, 1, v26
	v_mov_b32_e32 v2, v29
	v_mov_b32_e32 v3, v24
	v_add_lshl_u32 v51, v1, v0, 2
	v_or_b32_e32 v0, s6, v26
	v_cmp_eq_u32_e64 s[10:11], 0, v0
	v_ashrrev_i64 v[0:1], 30, v[2:3]
	v_mov_b32_e32 v2, s23
	v_add_co_u32_e32 v18, vcc, s22, v0
	v_addc_co_u32_e32 v19, vcc, v2, v1, vcc
	v_cvt_f32_u32_e32 v1, s70
	s_add_i32 s75, s75, -1
	s_lshl_b32 s76, s70, 8
	v_add_co_u32_e32 v12, vcc, s22, v6
	v_rcp_iflag_f32_e32 v1, v1
	s_cmp_eq_u64 s[22:23], 0
	v_addc_co_u32_e32 v13, vcc, v2, v7, vcc
	v_mul_f32_e32 v1, 0x4f7ffffe, v1
	v_add_u32_e32 v0, s70, v26
	s_movk_i32 s6, 0x400
	v_cvt_u32_f32_e32 v1, v1
	s_cselect_b64 s[44:45], -1, 0
	s_cmp_lg_u64 s[22:23], 0
	v_mov_b32_e32 v3, s70
	v_cmp_gt_u32_e32 vcc, s6, v0
	v_cmp_gt_i32_e64 s[0:1], s7, v4
	s_cselect_b64 s[26:27], -1, 0
	v_max_u32_e32 v2, 0x400, v0
	v_addc_co_u32_e64 v0, s[6:7], v26, v3, vcc
	s_cmp_eq_u32 s70, 1
	s_cselect_b64 s[12:13], -1, 0
	s_sub_i32 s6, 0, s70
	v_sub_u32_e32 v0, v2, v0
	v_mul_lo_u32 v2, s6, v1
	v_mul_hi_u32 v2, v1, v2
	v_add_u32_e32 v1, v1, v2
	v_mul_hi_u32 v1, v0, v1
	v_mul_lo_u32 v2, v1, s70
	v_sub_u32_e32 v0, v0, v2
	v_add_u32_e32 v2, 1, v1
	v_cmp_le_u32_e64 s[6:7], s70, v0
	v_cndmask_b32_e64 v1, v1, v2, s[6:7]
	v_subrev_u32_e32 v2, s70, v0
	v_cndmask_b32_e64 v0, v0, v2, s[6:7]
	v_add_u32_e32 v2, 1, v1
	v_cmp_le_u32_e64 s[6:7], s70, v0
	v_cndmask_b32_e64 v0, v1, v2, s[6:7]
	v_addc_co_u32_e64 v1, s[6:7], 1, v0, vcc
	v_cmp_lt_u32_e64 s[6:7], 1, v1
	s_and_b64 s[46:47], s[6:7], s[12:13]
	s_lshl_b32 s77, s70, 1
	s_add_u32 s29, s22, 4
	v_addc_co_u32_e32 v0, vcc, -1, v0, vcc
	s_addc_u32 s35, s23, 0
	v_lshrrev_b32_e32 v3, 1, v0
	s_add_u32 s62, s22, 8
	v_add_u32_e32 v3, 1, v3
	v_cmp_lt_u32_e64 s[12:13], 13, v0
	s_addc_u32 s63, s23, 0
	v_mov_b32_e32 v0, s41
	v_add_co_u32_e32 v36, vcc, s40, v30
	s_mov_b64 s[8:9], src_shared_base
	v_add_u32_e32 v27, s20, v4
	v_and_b32_e32 v2, -2, v1
	v_and_b32_e32 v52, 7, v3
	s_add_u32 s64, s22, 12
	v_addc_co_u32_e32 v37, vcc, 0, v0, vcc
	v_mbcnt_lo_u32_b32 v0, -1, 0
	s_mul_i32 s68, s28, 3
	v_cmp_gt_u64_e64 s[4:5], s[30:31], v[22:23]
	v_add_u32_e32 v32, 0x1080, v30
	v_mov_b32_e32 v33, s9
	v_cmp_gt_u32_e64 s[8:9], 64, v26
	v_add_u32_e32 v48, s20, v24
	v_mad_u64_u32 v[34:35], s[6:7], v2, s70, v[26:27]
	v_and_b32_e32 v53, -8, v3
	v_cmp_ne_u32_e64 s[14:15], 0, v52
	v_cmp_ne_u32_e64 s[16:17], v1, v2
	s_addc_u32 s65, s23, 0
	s_lshl_b32 s78, s70, 6
	s_lshl_b32 s79, s70, 3
	;; [unrolled: 1-line block ×3, first 2 shown]
	v_mov_b32_e32 v31, v29
	s_mov_b32 s81, s43
	s_lshl_b32 s82, s70, 4
	s_mul_i32 s83, s70, 6
	s_mul_i32 s84, s70, 10
	;; [unrolled: 1-line block ×4, first 2 shown]
	v_add_u32_e32 v54, 0x107c, v30
	v_mov_b32_e32 v55, 0x2184
	s_movk_i32 s87, 0x3ff
	v_mov_b32_e32 v56, 1
	v_bfrev_b32_e32 v57, -2
	v_mbcnt_hi_u32_b32 v58, -1, v0
	v_mov_b32_e32 v59, 0x1080
	s_mov_b64 s[48:49], s[40:41]
	s_mov_b32 s88, 0
	s_branch .LBB4_20
.LBB4_18:                               ;   in Loop: Header=BB4_20 Depth=1
	s_mov_b64 s[6:7], -1
	s_mov_b64 s[50:51], -1
                                        ; implicit-def: $sgpr88
                                        ; implicit-def: $vgpr36_vgpr37
                                        ; implicit-def: $sgpr48_sgpr49
                                        ; implicit-def: $sgpr89
.LBB4_19:                               ;   in Loop: Header=BB4_20 Depth=1
	s_and_b64 vcc, exec, s[50:51]
	s_cbranch_vccnz .LBB4_639
.LBB4_20:                               ; =>This Loop Header: Depth=1
                                        ;     Child Loop BB4_24 Depth 2
                                        ;     Child Loop BB4_28 Depth 2
	;; [unrolled: 1-line block ×15, first 2 shown]
	s_waitcnt lgkmcnt(0)
	ds_read2_b32 v[38:39], v55 offset1:1
	s_waitcnt lgkmcnt(0)
	v_cmp_eq_u32_e32 vcc, 0, v39
	s_cbranch_vccnz .LBB4_18
; %bb.21:                               ;   in Loop: Header=BB4_20 Depth=1
	s_mov_b64 s[50:51], -1
	v_mov_b32_e32 v0, v26
	v_mov_b32_e32 v1, v30
	s_and_saveexec_b64 s[6:7], s[46:47]
	s_cbranch_execz .LBB4_32
; %bb.22:                               ;   in Loop: Header=BB4_20 Depth=1
	s_waitcnt vmcnt(0)
	v_mov_b32_e32 v2, 0
	s_and_saveexec_b64 s[50:51], s[12:13]
	s_cbranch_execz .LBB4_26
; %bb.23:                               ;   in Loop: Header=BB4_20 Depth=1
	s_mov_b32 s42, 0
	s_mov_b64 s[52:53], 0
	v_mov_b32_e32 v0, v53
	v_mov_b32_e32 v1, v32
.LBB4_24:                               ;   Parent Loop BB4_20 Depth=1
                                        ; =>  This Inner Loop Header: Depth=2
	v_add_u32_e32 v2, s79, v1
	v_add_u32_e32 v3, s79, v2
	ds_write2_b32 v1, v29, v29 offset1:1
	ds_write2_b32 v2, v29, v29 offset1:1
	;; [unrolled: 1-line block ×3, first 2 shown]
	v_add_u32_e32 v3, s79, v3
	ds_write2_b32 v3, v29, v29 offset1:1
	v_add_u32_e32 v3, s79, v3
	v_add_u32_e32 v0, -8, v0
	ds_write2_b32 v3, v29, v29 offset1:1
	v_add_u32_e32 v3, s79, v3
	s_add_i32 s42, s42, 16
	v_cmp_eq_u32_e32 vcc, 0, v0
	ds_write2_b32 v3, v29, v29 offset1:1
	v_add_u32_e32 v3, s79, v3
	v_add_u32_e32 v1, s78, v1
	v_mov_b32_e32 v2, s42
	s_or_b64 s[52:53], vcc, s[52:53]
	ds_write2_b32 v3, v29, v29 offset1:1
	v_add_u32_e32 v3, s79, v3
	ds_write2_b32 v3, v29, v29 offset1:1
	s_andn2_b64 exec, exec, s[52:53]
	s_cbranch_execnz .LBB4_24
; %bb.25:                               ;   in Loop: Header=BB4_20 Depth=1
	s_or_b64 exec, exec, s[52:53]
.LBB4_26:                               ;   in Loop: Header=BB4_20 Depth=1
	s_or_b64 exec, exec, s[50:51]
	s_and_saveexec_b64 s[50:51], s[14:15]
	s_cbranch_execz .LBB4_29
; %bb.27:                               ;   in Loop: Header=BB4_20 Depth=1
	v_mad_u64_u32 v[0:1], s[52:53], s80, v2, v[32:33]
	s_mov_b64 s[52:53], 0
	v_mov_b32_e32 v1, v52
.LBB4_28:                               ;   Parent Loop BB4_20 Depth=1
                                        ; =>  This Inner Loop Header: Depth=2
	v_add_u32_e32 v1, -1, v1
	v_cmp_eq_u32_e32 vcc, 0, v1
	ds_write2_b32 v0, v29, v29 offset1:1
	s_or_b64 s[52:53], vcc, s[52:53]
	v_add_u32_e32 v0, s79, v0
	s_andn2_b64 exec, exec, s[52:53]
	s_cbranch_execnz .LBB4_28
.LBB4_29:                               ;   in Loop: Header=BB4_20 Depth=1
	s_or_b64 exec, exec, s[50:51]
	s_mov_b64 s[50:51], 0
                                        ; implicit-def: $vgpr1
	s_and_saveexec_b64 s[52:53], s[16:17]
	s_xor_b64 s[52:53], exec, s[52:53]
; %bb.30:                               ;   in Loop: Header=BB4_20 Depth=1
	s_mov_b64 s[50:51], exec
	v_lshlrev_b32_e32 v1, 2, v34
; %bb.31:                               ;   in Loop: Header=BB4_20 Depth=1
	s_or_b64 exec, exec, s[52:53]
	s_orn2_b64 s[50:51], s[50:51], exec
	v_mov_b32_e32 v0, v34
.LBB4_32:                               ;   in Loop: Header=BB4_20 Depth=1
	s_or_b64 exec, exec, s[6:7]
	s_and_saveexec_b64 s[6:7], s[50:51]
	s_cbranch_execz .LBB4_35
; %bb.33:                               ;   in Loop: Header=BB4_20 Depth=1
	v_add_u32_e32 v1, 0x1080, v1
	s_mov_b64 s[50:51], 0
.LBB4_34:                               ;   Parent Loop BB4_20 Depth=1
                                        ; =>  This Inner Loop Header: Depth=2
	v_add_u32_e32 v0, s70, v0
	v_cmp_lt_u32_e32 vcc, s87, v0
	ds_write_b32 v1, v29
	s_or_b64 s[50:51], vcc, s[50:51]
	v_add_u32_e32 v1, s80, v1
	s_andn2_b64 exec, exec, s[50:51]
	s_cbranch_execnz .LBB4_34
.LBB4_35:                               ;   in Loop: Header=BB4_20 Depth=1
	s_or_b64 exec, exec, s[6:7]
	v_cmp_ne_u32_e32 vcc, v39, v38
	s_mul_i32 s89, s88, -10
	s_waitcnt lgkmcnt(0)
	s_barrier
	s_cbranch_vccz .LBB4_72
; %bb.36:                               ;   in Loop: Header=BB4_20 Depth=1
	s_max_i32 s56, s89, 0xffffffea
	s_add_i32 s56, s56, 22
	s_cmp_lg_u32 s88, 0
	s_cbranch_scc0 .LBB4_73
; %bb.37:                               ;   in Loop: Header=BB4_20 Depth=1
	ds_read_b32 v28, v29 offset:8576
	s_add_i32 s42, s89, 32
	v_mov_b32_e32 v40, v24
	s_and_saveexec_b64 s[6:7], s[4:5]
	s_cbranch_execz .LBB4_75
; %bb.38:                               ;   in Loop: Header=BB4_20 Depth=1
	s_lshl_b32 s54, -1, s42
	s_mov_b64 s[50:51], 0
	v_pk_mov_b32 v[8:9], v[22:23], v[22:23] op_sel:[0,1]
	v_pk_mov_b32 v[40:41], v[20:21], v[20:21] op_sel:[0,1]
	s_branch .LBB4_40
.LBB4_39:                               ;   in Loop: Header=BB4_40 Depth=2
	s_or_b64 exec, exec, s[52:53]
	v_add_u32_e32 v40, s61, v40
	v_ashrrev_i32_e32 v41, 31, v40
	v_mov_b32_e32 v0, s67
	v_add_co_u32_e32 v8, vcc, s68, v40
	v_addc_co_u32_e32 v9, vcc, v0, v41, vcc
	v_cmp_le_u64_e32 vcc, s[30:31], v[8:9]
	s_or_b64 s[50:51], vcc, s[50:51]
	s_andn2_b64 exec, exec, s[50:51]
	s_cbranch_execz .LBB4_74
.LBB4_40:                               ;   Parent Loop BB4_20 Depth=1
                                        ; =>  This Inner Loop Header: Depth=2
	v_lshlrev_b64 v[10:11], 4, v[40:41]
	v_mov_b32_e32 v1, s66
	v_add_co_u32_e32 v0, vcc, s60, v10
	v_addc_co_u32_e32 v1, vcc, v1, v11, vcc
	global_load_dwordx4 v[0:3], v[0:1], off
	s_waitcnt vmcnt(1)
	v_mov_b32_e32 v5, s72
	v_add_co_u32_e32 v4, vcc, s71, v10
	v_addc_co_u32_e32 v5, vcc, v5, v11, vcc
	global_load_dwordx4 v[4:7], v[4:5], off
	s_waitcnt vmcnt(1)
	v_cmp_gt_i32_e32 vcc, 0, v0
	v_cndmask_b32_e64 v35, v57, 0, vcc
	v_xor_b32_e32 v0, v35, v0
	v_and_b32_e32 v35, s54, v0
	s_waitcnt lgkmcnt(0)
	v_cmp_eq_u32_e32 vcc, v35, v28
	s_and_saveexec_b64 s[52:53], vcc
	s_cbranch_execz .LBB4_42
; %bb.41:                               ;   in Loop: Header=BB4_40 Depth=2
	v_bfe_u32 v0, v0, s56, 10
	v_lshlrev_b32_e32 v0, 2, v0
	ds_add_u32 v0, v56 offset:4224
.LBB4_42:                               ;   in Loop: Header=BB4_40 Depth=2
	s_or_b64 exec, exec, s[52:53]
	v_cmp_gt_i32_e32 vcc, 0, v1
	v_cndmask_b32_e64 v0, v57, 0, vcc
	v_xor_b32_e32 v0, v0, v1
	v_and_b32_e32 v1, s54, v0
	v_cmp_eq_u32_e32 vcc, v1, v28
	s_and_saveexec_b64 s[52:53], vcc
	s_cbranch_execz .LBB4_44
; %bb.43:                               ;   in Loop: Header=BB4_40 Depth=2
	v_bfe_u32 v0, v0, s56, 10
	v_lshlrev_b32_e32 v0, 2, v0
	ds_add_u32 v0, v56 offset:4224
.LBB4_44:                               ;   in Loop: Header=BB4_40 Depth=2
	s_or_b64 exec, exec, s[52:53]
	v_cmp_gt_i32_e32 vcc, 0, v2
	v_cndmask_b32_e64 v0, v57, 0, vcc
	v_xor_b32_e32 v0, v0, v2
	v_and_b32_e32 v1, s54, v0
	;; [unrolled: 13-line block ×3, first 2 shown]
	v_cmp_eq_u32_e32 vcc, v1, v28
	s_and_saveexec_b64 s[52:53], vcc
	s_cbranch_execz .LBB4_48
; %bb.47:                               ;   in Loop: Header=BB4_40 Depth=2
	v_bfe_u32 v0, v0, s56, 10
	v_lshlrev_b32_e32 v0, 2, v0
	ds_add_u32 v0, v56 offset:4224
.LBB4_48:                               ;   in Loop: Header=BB4_40 Depth=2
	s_or_b64 exec, exec, s[52:53]
	v_mov_b32_e32 v1, s74
	v_add_co_u32_e32 v0, vcc, s73, v10
	v_addc_co_u32_e32 v1, vcc, v1, v11, vcc
	v_lshlrev_b64 v[2:3], 4, v[8:9]
	v_mov_b32_e32 v8, s66
	v_add_co_u32_e32 v2, vcc, s60, v2
	v_addc_co_u32_e32 v3, vcc, v8, v3, vcc
	global_load_dwordx4 v[8:11], v[0:1], off
	s_nop 0
	global_load_dwordx4 v[0:3], v[2:3], off
	s_waitcnt vmcnt(2)
	v_cmp_gt_i32_e32 vcc, 0, v4
	v_cndmask_b32_e64 v35, v57, 0, vcc
	v_xor_b32_e32 v4, v35, v4
	v_and_b32_e32 v35, s54, v4
	v_cmp_eq_u32_e32 vcc, v35, v28
	s_and_saveexec_b64 s[52:53], vcc
	s_cbranch_execz .LBB4_50
; %bb.49:                               ;   in Loop: Header=BB4_40 Depth=2
	v_bfe_u32 v4, v4, s56, 10
	v_lshlrev_b32_e32 v4, 2, v4
	ds_add_u32 v4, v56 offset:4224
.LBB4_50:                               ;   in Loop: Header=BB4_40 Depth=2
	s_or_b64 exec, exec, s[52:53]
	v_cmp_gt_i32_e32 vcc, 0, v5
	v_cndmask_b32_e64 v4, v57, 0, vcc
	v_xor_b32_e32 v4, v4, v5
	v_and_b32_e32 v5, s54, v4
	v_cmp_eq_u32_e32 vcc, v5, v28
	s_and_saveexec_b64 s[52:53], vcc
	s_cbranch_execz .LBB4_52
; %bb.51:                               ;   in Loop: Header=BB4_40 Depth=2
	v_bfe_u32 v4, v4, s56, 10
	v_lshlrev_b32_e32 v4, 2, v4
	ds_add_u32 v4, v56 offset:4224
.LBB4_52:                               ;   in Loop: Header=BB4_40 Depth=2
	s_or_b64 exec, exec, s[52:53]
	;; [unrolled: 13-line block ×4, first 2 shown]
	s_waitcnt vmcnt(1)
	v_cmp_gt_i32_e32 vcc, 0, v8
	v_cndmask_b32_e64 v4, v57, 0, vcc
	v_xor_b32_e32 v4, v4, v8
	v_and_b32_e32 v5, s54, v4
	v_cmp_eq_u32_e32 vcc, v5, v28
	s_and_saveexec_b64 s[52:53], vcc
	s_cbranch_execz .LBB4_58
; %bb.57:                               ;   in Loop: Header=BB4_40 Depth=2
	v_bfe_u32 v4, v4, s56, 10
	v_lshlrev_b32_e32 v4, 2, v4
	ds_add_u32 v4, v56 offset:4224
.LBB4_58:                               ;   in Loop: Header=BB4_40 Depth=2
	s_or_b64 exec, exec, s[52:53]
	v_cmp_gt_i32_e32 vcc, 0, v9
	v_cndmask_b32_e64 v4, v57, 0, vcc
	v_xor_b32_e32 v4, v4, v9
	v_and_b32_e32 v5, s54, v4
	v_cmp_eq_u32_e32 vcc, v5, v28
	s_and_saveexec_b64 s[52:53], vcc
	s_cbranch_execz .LBB4_60
; %bb.59:                               ;   in Loop: Header=BB4_40 Depth=2
	v_bfe_u32 v4, v4, s56, 10
	v_lshlrev_b32_e32 v4, 2, v4
	ds_add_u32 v4, v56 offset:4224
.LBB4_60:                               ;   in Loop: Header=BB4_40 Depth=2
	s_or_b64 exec, exec, s[52:53]
	;; [unrolled: 13-line block ×4, first 2 shown]
	s_waitcnt vmcnt(0)
	v_cmp_gt_i32_e32 vcc, 0, v0
	v_cndmask_b32_e64 v4, v57, 0, vcc
	v_xor_b32_e32 v0, v4, v0
	v_and_b32_e32 v4, s54, v0
	v_cmp_eq_u32_e32 vcc, v4, v28
	s_and_saveexec_b64 s[52:53], vcc
	s_cbranch_execz .LBB4_66
; %bb.65:                               ;   in Loop: Header=BB4_40 Depth=2
	v_bfe_u32 v0, v0, s56, 10
	v_lshlrev_b32_e32 v0, 2, v0
	ds_add_u32 v0, v56 offset:4224
.LBB4_66:                               ;   in Loop: Header=BB4_40 Depth=2
	s_or_b64 exec, exec, s[52:53]
	v_cmp_gt_i32_e32 vcc, 0, v1
	v_cndmask_b32_e64 v0, v57, 0, vcc
	v_xor_b32_e32 v0, v0, v1
	v_and_b32_e32 v1, s54, v0
	v_cmp_eq_u32_e32 vcc, v1, v28
	s_and_saveexec_b64 s[52:53], vcc
	s_cbranch_execz .LBB4_68
; %bb.67:                               ;   in Loop: Header=BB4_40 Depth=2
	v_bfe_u32 v0, v0, s56, 10
	v_lshlrev_b32_e32 v0, 2, v0
	ds_add_u32 v0, v56 offset:4224
.LBB4_68:                               ;   in Loop: Header=BB4_40 Depth=2
	s_or_b64 exec, exec, s[52:53]
	;; [unrolled: 13-line block ×3, first 2 shown]
	v_cmp_gt_i32_e32 vcc, 0, v3
	v_cndmask_b32_e64 v0, v57, 0, vcc
	v_xor_b32_e32 v0, v0, v3
	v_and_b32_e32 v1, s54, v0
	v_cmp_eq_u32_e32 vcc, v1, v28
	s_and_saveexec_b64 s[52:53], vcc
	s_cbranch_execz .LBB4_39
; %bb.71:                               ;   in Loop: Header=BB4_40 Depth=2
	v_bfe_u32 v0, v0, s56, 10
	v_lshlrev_b32_e32 v0, 2, v0
	ds_add_u32 v0, v56 offset:4224
	s_branch .LBB4_39
.LBB4_72:                               ;   in Loop: Header=BB4_20 Depth=1
	s_mov_b64 s[50:51], -1
	s_mov_b64 s[6:7], 0
                                        ; implicit-def: $sgpr88
                                        ; implicit-def: $vgpr36_vgpr37
                                        ; implicit-def: $sgpr48_sgpr49
	s_branch .LBB4_19
.LBB4_73:                               ;   in Loop: Header=BB4_20 Depth=1
	s_mov_b64 s[50:51], 0
                                        ; implicit-def: $vgpr0
	s_cbranch_execnz .LBB4_94
	s_branch .LBB4_106
.LBB4_74:                               ;   in Loop: Header=BB4_20 Depth=1
	s_or_b64 exec, exec, s[50:51]
.LBB4_75:                               ;   in Loop: Header=BB4_20 Depth=1
	s_or_b64 exec, exec, s[6:7]
	v_cmp_gt_i32_e32 vcc, s30, v40
	s_and_saveexec_b64 s[6:7], vcc
	s_cbranch_execz .LBB4_86
; %bb.76:                               ;   in Loop: Header=BB4_20 Depth=1
	s_lshl_b32 s54, -1, s42
	s_mov_b64 s[50:51], 0
	s_branch .LBB4_78
.LBB4_77:                               ;   in Loop: Header=BB4_78 Depth=2
	s_or_b64 exec, exec, s[52:53]
	v_add_u32_e32 v40, s28, v40
	v_cmp_le_i32_e32 vcc, s30, v40
	s_or_b64 s[50:51], vcc, s[50:51]
	s_andn2_b64 exec, exec, s[50:51]
	s_cbranch_execz .LBB4_86
.LBB4_78:                               ;   Parent Loop BB4_20 Depth=1
                                        ; =>  This Inner Loop Header: Depth=2
	v_ashrrev_i32_e32 v41, 31, v40
	v_lshlrev_b64 v[0:1], 4, v[40:41]
	s_waitcnt vmcnt(0)
	v_mov_b32_e32 v2, s66
	v_add_co_u32_e32 v0, vcc, s60, v0
	v_addc_co_u32_e32 v1, vcc, v2, v1, vcc
	global_load_dwordx4 v[0:3], v[0:1], off
	s_waitcnt vmcnt(0)
	v_cmp_gt_i32_e32 vcc, 0, v0
	v_cndmask_b32_e64 v4, v57, 0, vcc
	v_xor_b32_e32 v0, v4, v0
	v_and_b32_e32 v4, s54, v0
	s_waitcnt lgkmcnt(0)
	v_cmp_eq_u32_e32 vcc, v4, v28
	s_and_saveexec_b64 s[52:53], vcc
	s_cbranch_execz .LBB4_80
; %bb.79:                               ;   in Loop: Header=BB4_78 Depth=2
	v_bfe_u32 v0, v0, s56, 10
	v_lshlrev_b32_e32 v0, 2, v0
	ds_add_u32 v0, v56 offset:4224
.LBB4_80:                               ;   in Loop: Header=BB4_78 Depth=2
	s_or_b64 exec, exec, s[52:53]
	v_cmp_gt_i32_e32 vcc, 0, v1
	v_cndmask_b32_e64 v0, v57, 0, vcc
	v_xor_b32_e32 v0, v0, v1
	v_and_b32_e32 v1, s54, v0
	v_cmp_eq_u32_e32 vcc, v1, v28
	s_and_saveexec_b64 s[52:53], vcc
	s_cbranch_execz .LBB4_82
; %bb.81:                               ;   in Loop: Header=BB4_78 Depth=2
	v_bfe_u32 v0, v0, s56, 10
	v_lshlrev_b32_e32 v0, 2, v0
	ds_add_u32 v0, v56 offset:4224
.LBB4_82:                               ;   in Loop: Header=BB4_78 Depth=2
	s_or_b64 exec, exec, s[52:53]
	v_cmp_gt_i32_e32 vcc, 0, v2
	v_cndmask_b32_e64 v0, v57, 0, vcc
	v_xor_b32_e32 v0, v0, v2
	v_and_b32_e32 v1, s54, v0
	;; [unrolled: 13-line block ×3, first 2 shown]
	v_cmp_eq_u32_e32 vcc, v1, v28
	s_and_saveexec_b64 s[52:53], vcc
	s_cbranch_execz .LBB4_77
; %bb.85:                               ;   in Loop: Header=BB4_78 Depth=2
	v_bfe_u32 v0, v0, s56, 10
	v_lshlrev_b32_e32 v0, 2, v0
	ds_add_u32 v0, v56 offset:4224
	s_branch .LBB4_77
.LBB4_86:                               ;   in Loop: Header=BB4_20 Depth=1
	s_or_b64 exec, exec, s[6:7]
	s_and_saveexec_b64 s[6:7], s[2:3]
	s_cbranch_execz .LBB4_89
; %bb.87:                               ;   in Loop: Header=BB4_20 Depth=1
	global_load_dword v0, v[16:17], off
	s_lshl_b32 s50, -1, s42
	s_waitcnt vmcnt(0)
	v_cmp_gt_i32_e32 vcc, 0, v0
	v_cndmask_b32_e64 v1, v57, 0, vcc
	v_xor_b32_e32 v0, v1, v0
	v_and_b32_e32 v1, s50, v0
	s_waitcnt lgkmcnt(0)
	v_cmp_eq_u32_e32 vcc, v1, v28
	s_and_b64 exec, exec, vcc
	s_cbranch_execz .LBB4_89
; %bb.88:                               ;   in Loop: Header=BB4_20 Depth=1
	v_bfe_u32 v0, v0, s56, 10
	v_lshlrev_b32_e32 v0, 2, v0
	ds_add_u32 v0, v56 offset:4224
.LBB4_89:                               ;   in Loop: Header=BB4_20 Depth=1
	s_or_b64 exec, exec, s[6:7]
	s_mov_b64 s[6:7], 0
	s_mov_b64 s[50:51], 0
                                        ; implicit-def: $vgpr0
	s_and_saveexec_b64 s[52:53], s[0:1]
	s_cbranch_execz .LBB4_93
; %bb.90:                               ;   in Loop: Header=BB4_20 Depth=1
	global_load_dword v0, v[14:15], off
	s_lshl_b32 s42, -1, s42
	s_waitcnt vmcnt(0)
	v_cmp_gt_i32_e32 vcc, 0, v0
	v_cndmask_b32_e64 v1, v57, 0, vcc
	v_xor_b32_e32 v1, v1, v0
	v_and_b32_e32 v0, s42, v1
	s_waitcnt lgkmcnt(0)
	v_cmp_eq_u32_e32 vcc, v0, v28
                                        ; implicit-def: $vgpr0
	s_and_saveexec_b64 s[54:55], vcc
	s_xor_b64 s[54:55], exec, s[54:55]
; %bb.91:                               ;   in Loop: Header=BB4_20 Depth=1
	s_mov_b64 s[50:51], exec
	v_bfe_u32 v0, v1, s56, 10
; %bb.92:                               ;   in Loop: Header=BB4_20 Depth=1
	s_or_b64 exec, exec, s[54:55]
	s_and_b64 s[50:51], s[50:51], exec
.LBB4_93:                               ;   in Loop: Header=BB4_20 Depth=1
	s_or_b64 exec, exec, s[52:53]
	s_and_b64 vcc, exec, s[6:7]
	s_cbranch_vccz .LBB4_106
.LBB4_94:                               ;   in Loop: Header=BB4_20 Depth=1
	v_mov_b32_e32 v8, v24
	s_and_saveexec_b64 s[52:53], s[4:5]
	s_cbranch_execz .LBB4_98
; %bb.95:                               ;   in Loop: Header=BB4_20 Depth=1
	s_mov_b64 s[54:55], 0
	v_pk_mov_b32 v[10:11], v[22:23], v[22:23] op_sel:[0,1]
	v_pk_mov_b32 v[8:9], v[20:21], v[20:21] op_sel:[0,1]
.LBB4_96:                               ;   Parent Loop BB4_20 Depth=1
                                        ; =>  This Inner Loop Header: Depth=2
	s_waitcnt vmcnt(0)
	v_lshlrev_b64 v[4:5], 4, v[8:9]
	v_mov_b32_e32 v9, s66
	v_add_co_u32_e32 v0, vcc, s60, v4
	v_addc_co_u32_e32 v1, vcc, v9, v5, vcc
	global_load_dwordx4 v[0:3], v[0:1], off
	s_waitcnt lgkmcnt(0)
	v_mov_b32_e32 v28, s72
	v_lshlrev_b64 v[6:7], 4, v[10:11]
	v_add_co_u32_e32 v10, vcc, s71, v4
	v_addc_co_u32_e32 v11, vcc, v28, v5, vcc
	global_load_dwordx4 v[40:43], v[10:11], off
	v_mov_b32_e32 v35, s74
	v_add_co_u32_e32 v4, vcc, s73, v4
	v_addc_co_u32_e32 v5, vcc, v35, v5, vcc
	v_add_co_u32_e32 v44, vcc, s60, v6
	v_addc_co_u32_e32 v45, vcc, v9, v7, vcc
	v_add_u32_e32 v8, s61, v8
	v_mov_b32_e32 v11, s67
	s_waitcnt vmcnt(1)
	v_cmp_gt_i32_e32 vcc, 0, v0
	v_cndmask_b32_e64 v6, v57, 0, vcc
	v_cmp_gt_i32_e32 vcc, 0, v1
	v_cndmask_b32_e64 v7, v57, 0, vcc
	;; [unrolled: 2-line block ×4, first 2 shown]
	v_xor_b32_e32 v0, v6, v0
	v_xor_b32_e32 v1, v7, v1
	;; [unrolled: 1-line block ×4, first 2 shown]
	v_bfe_u32 v0, v0, s56, 10
	v_bfe_u32 v1, v1, s56, 10
	;; [unrolled: 1-line block ×4, first 2 shown]
	v_lshlrev_b32_e32 v0, 2, v0
	v_lshlrev_b32_e32 v1, 2, v1
	;; [unrolled: 1-line block ×4, first 2 shown]
	ds_add_u32 v0, v56 offset:4224
	ds_add_u32 v1, v56 offset:4224
	;; [unrolled: 1-line block ×4, first 2 shown]
	global_load_dwordx4 v[4:7], v[4:5], off
	s_nop 0
	global_load_dwordx4 v[0:3], v[44:45], off
	s_waitcnt vmcnt(2)
	v_cmp_gt_i32_e64 s[6:7], 0, v40
	v_cndmask_b32_e64 v28, v57, 0, s[6:7]
	v_cmp_gt_i32_e64 s[6:7], 0, v41
	v_cndmask_b32_e64 v35, v57, 0, s[6:7]
	v_cmp_gt_i32_e64 s[6:7], 0, v42
	v_cndmask_b32_e64 v39, v57, 0, s[6:7]
	v_cmp_gt_i32_e64 s[6:7], 0, v43
	v_cndmask_b32_e64 v44, v57, 0, s[6:7]
	v_xor_b32_e32 v28, v28, v40
	v_xor_b32_e32 v35, v35, v41
	;; [unrolled: 1-line block ×4, first 2 shown]
	v_bfe_u32 v28, v28, s56, 10
	v_bfe_u32 v35, v35, s56, 10
	;; [unrolled: 1-line block ×4, first 2 shown]
	v_lshlrev_b32_e32 v28, 2, v28
	v_lshlrev_b32_e32 v35, 2, v35
	;; [unrolled: 1-line block ×4, first 2 shown]
	ds_add_u32 v28, v56 offset:4224
	ds_add_u32 v35, v56 offset:4224
	;; [unrolled: 1-line block ×4, first 2 shown]
	v_ashrrev_i32_e32 v9, 31, v8
	v_add_co_u32_e32 v10, vcc, s68, v8
	v_addc_co_u32_e32 v11, vcc, v11, v9, vcc
	v_cmp_le_u64_e32 vcc, s[30:31], v[10:11]
	s_or_b64 s[54:55], vcc, s[54:55]
	s_waitcnt vmcnt(1)
	v_cmp_gt_i32_e64 s[6:7], 0, v4
	v_cndmask_b32_e64 v28, v57, 0, s[6:7]
	v_cmp_gt_i32_e64 s[6:7], 0, v5
	v_cndmask_b32_e64 v35, v57, 0, s[6:7]
	;; [unrolled: 2-line block ×4, first 2 shown]
	s_waitcnt vmcnt(0)
	v_cmp_gt_i32_e64 s[6:7], 0, v0
	v_cndmask_b32_e64 v41, v57, 0, s[6:7]
	v_cmp_gt_i32_e64 s[6:7], 0, v1
	v_cndmask_b32_e64 v42, v57, 0, s[6:7]
	;; [unrolled: 2-line block ×4, first 2 shown]
	v_xor_b32_e32 v4, v28, v4
	v_xor_b32_e32 v5, v35, v5
	;; [unrolled: 1-line block ×8, first 2 shown]
	v_bfe_u32 v4, v4, s56, 10
	v_bfe_u32 v5, v5, s56, 10
	;; [unrolled: 1-line block ×8, first 2 shown]
	v_lshlrev_b32_e32 v4, 2, v4
	v_lshlrev_b32_e32 v5, 2, v5
	;; [unrolled: 1-line block ×8, first 2 shown]
	ds_add_u32 v4, v56 offset:4224
	ds_add_u32 v5, v56 offset:4224
	;; [unrolled: 1-line block ×8, first 2 shown]
	s_andn2_b64 exec, exec, s[54:55]
	s_cbranch_execnz .LBB4_96
; %bb.97:                               ;   in Loop: Header=BB4_20 Depth=1
	s_or_b64 exec, exec, s[54:55]
.LBB4_98:                               ;   in Loop: Header=BB4_20 Depth=1
	s_or_b64 exec, exec, s[52:53]
	v_cmp_gt_i32_e32 vcc, s30, v8
	s_and_saveexec_b64 s[6:7], vcc
	s_cbranch_execz .LBB4_101
; %bb.99:                               ;   in Loop: Header=BB4_20 Depth=1
	s_mov_b64 s[52:53], 0
.LBB4_100:                              ;   Parent Loop BB4_20 Depth=1
                                        ; =>  This Inner Loop Header: Depth=2
	v_ashrrev_i32_e32 v9, 31, v8
	v_lshlrev_b64 v[0:1], 4, v[8:9]
	s_waitcnt vmcnt(0)
	v_mov_b32_e32 v2, s66
	v_add_co_u32_e32 v0, vcc, s60, v0
	v_addc_co_u32_e32 v1, vcc, v2, v1, vcc
	global_load_dwordx4 v[0:3], v[0:1], off
	v_add_u32_e32 v8, s28, v8
	s_waitcnt vmcnt(0)
	v_cmp_gt_i32_e32 vcc, 0, v0
	v_cndmask_b32_e64 v4, v57, 0, vcc
	v_cmp_gt_i32_e32 vcc, 0, v1
	v_cndmask_b32_e64 v5, v57, 0, vcc
	;; [unrolled: 2-line block ×3, first 2 shown]
	v_cmp_gt_i32_e32 vcc, 0, v3
	v_xor_b32_e32 v0, v4, v0
	v_cndmask_b32_e64 v7, v57, 0, vcc
	v_xor_b32_e32 v1, v5, v1
	v_xor_b32_e32 v2, v6, v2
	v_bfe_u32 v0, v0, s56, 10
	v_xor_b32_e32 v3, v7, v3
	v_bfe_u32 v1, v1, s56, 10
	v_bfe_u32 v2, v2, s56, 10
	v_lshlrev_b32_e32 v0, 2, v0
	v_bfe_u32 v3, v3, s56, 10
	v_lshlrev_b32_e32 v1, 2, v1
	v_lshlrev_b32_e32 v2, 2, v2
	ds_add_u32 v0, v56 offset:4224
	ds_add_u32 v1, v56 offset:4224
	;; [unrolled: 1-line block ×3, first 2 shown]
	v_lshlrev_b32_e32 v0, 2, v3
	ds_add_u32 v0, v56 offset:4224
	v_cmp_le_i32_e32 vcc, s30, v8
	s_or_b64 s[52:53], vcc, s[52:53]
	s_andn2_b64 exec, exec, s[52:53]
	s_cbranch_execnz .LBB4_100
.LBB4_101:                              ;   in Loop: Header=BB4_20 Depth=1
	s_or_b64 exec, exec, s[6:7]
	s_and_saveexec_b64 s[6:7], s[2:3]
	s_cbranch_execz .LBB4_103
; %bb.102:                              ;   in Loop: Header=BB4_20 Depth=1
	global_load_dword v0, v[16:17], off
	s_waitcnt vmcnt(0)
	v_cmp_gt_i32_e32 vcc, 0, v0
	v_cndmask_b32_e64 v1, v57, 0, vcc
	v_xor_b32_e32 v0, v1, v0
	v_bfe_u32 v0, v0, s56, 10
	v_lshlrev_b32_e32 v0, 2, v0
	ds_add_u32 v0, v56 offset:4224
.LBB4_103:                              ;   in Loop: Header=BB4_20 Depth=1
	s_or_b64 exec, exec, s[6:7]
                                        ; implicit-def: $vgpr0
	s_and_saveexec_b64 s[6:7], s[0:1]
	s_cbranch_execz .LBB4_105
; %bb.104:                              ;   in Loop: Header=BB4_20 Depth=1
	global_load_dword v0, v[14:15], off
	s_or_b64 s[50:51], s[50:51], exec
	s_waitcnt vmcnt(0)
	v_cmp_gt_i32_e32 vcc, 0, v0
	v_cndmask_b32_e64 v1, v57, 0, vcc
	v_xor_b32_e32 v0, v1, v0
	v_bfe_u32 v0, v0, s56, 10
.LBB4_105:                              ;   in Loop: Header=BB4_20 Depth=1
	s_or_b64 exec, exec, s[6:7]
.LBB4_106:                              ;   in Loop: Header=BB4_20 Depth=1
	s_and_saveexec_b64 s[6:7], s[50:51]
	s_cbranch_execz .LBB4_108
; %bb.107:                              ;   in Loop: Header=BB4_20 Depth=1
	v_lshlrev_b32_e32 v0, 2, v0
	ds_add_u32 v0, v56 offset:4224
.LBB4_108:                              ;   in Loop: Header=BB4_20 Depth=1
	s_or_b64 exec, exec, s[6:7]
	s_mov_b64 s[6:7], 0
	s_waitcnt vmcnt(0)
	v_mov_b32_e32 v2, v32
	v_pk_mov_b32 v[0:1], v[36:37], v[36:37] op_sel:[0,1]
	v_mov_b32_e32 v3, v26
	s_waitcnt lgkmcnt(0)
	s_barrier
	s_branch .LBB4_110
.LBB4_109:                              ;   in Loop: Header=BB4_110 Depth=2
	s_or_b64 exec, exec, s[50:51]
	v_mov_b32_e32 v4, s81
	v_add_co_u32_e32 v0, vcc, s80, v0
	v_add_u32_e32 v3, s70, v3
	v_addc_co_u32_e32 v1, vcc, v1, v4, vcc
	v_cmp_lt_u32_e32 vcc, s87, v3
	s_or_b64 s[6:7], vcc, s[6:7]
	v_add_u32_e32 v2, s80, v2
	s_andn2_b64 exec, exec, s[6:7]
	s_cbranch_execz .LBB4_112
.LBB4_110:                              ;   Parent Loop BB4_20 Depth=1
                                        ; =>  This Inner Loop Header: Depth=2
	ds_read_b32 v4, v2
	s_waitcnt lgkmcnt(0)
	v_cmp_ne_u32_e32 vcc, 0, v4
	s_and_saveexec_b64 s[50:51], vcc
	s_cbranch_execz .LBB4_109
; %bb.111:                              ;   in Loop: Header=BB4_110 Depth=2
	global_atomic_add v[0:1], v4, off
	s_branch .LBB4_109
.LBB4_112:                              ;   in Loop: Header=BB4_20 Depth=1
	s_or_b64 exec, exec, s[6:7]
	s_mov_b64 s[6:7], 0
	s_barrier
	s_and_saveexec_b64 s[50:51], s[18:19]
	s_cbranch_execz .LBB4_114
; %bb.113:                              ;   in Loop: Header=BB4_20 Depth=1
	v_mov_b32_e32 v0, s75
	global_atomic_inc v0, v29, v0, s[24:25] offset:256 glc
	s_waitcnt vmcnt(0)
	v_cmp_eq_u32_e32 vcc, s75, v0
	s_and_b64 s[6:7], vcc, exec
.LBB4_114:                              ;   in Loop: Header=BB4_20 Depth=1
	s_or_b64 exec, exec, s[50:51]
	global_load_dword v0, v29, s[38:39] offset:14
	v_cndmask_b32_e64 v1, 0, 1, s[6:7]
	s_waitcnt vmcnt(0)
	v_readfirstlane_b32 s6, v0
	v_or_b32_dpp v1, v1, v1 row_shl:1 row_mask:0xf bank_mask:0xf bound_ctrl:1
	s_lshr_b32 s50, s6, 16
	s_and_b32 s6, s6, 0xffff
	v_or_b32_dpp v1, v1, v1 row_shl:2 row_mask:0xf bank_mask:0xf bound_ctrl:1
	s_mul_i32 s51, s76, s6
	s_ashr_i32 s51, s51, 8
	v_or_b32_dpp v1, v1, v1 row_shl:4 row_mask:0xf bank_mask:0xf bound_ctrl:1
	s_mul_i32 s50, s51, s50
	s_add_i32 s50, s50, 63
	v_or_b32_dpp v1, v1, v1 row_shl:8 row_mask:0xf bank_mask:0xf bound_ctrl:1
	s_bitcmp1_b32 exec_hi, 0
	s_nop 0
	v_mov_b32_dpp v2, v1 wave_shl:1 row_mask:0xf bank_mask:0xf bound_ctrl:1
	s_nop 1
	v_or_b32_dpp v1, v2, v1 row_mirror row_mask:0xf bank_mask:0xf bound_ctrl:1
	v_readlane_b32 s7, v1, 32
	v_readlane_b32 s42, v1, 0
	s_cselect_b32 s7, s7, 0
	s_or_b32 s42, s7, s42
	s_andn2_b32 s50, s50, 63
	s_cmp_eq_u32 s50, 64
	v_mov_b32_e32 v0, s42
	s_cbranch_scc1 .LBB4_121
; %bb.115:                              ;   in Loop: Header=BB4_20 Depth=1
	v_mad_u32_u24 v0, v25, s6, v49
	v_mad_u64_u32 v[0:1], s[6:7], v0, s70, v[26:27]
	v_lshrrev_b32_e32 v1, 6, v0
	v_or_b32_e32 v1, v58, v1
	v_cmp_eq_u32_e32 vcc, 0, v1
	s_and_saveexec_b64 s[6:7], vcc
	s_cbranch_execz .LBB4_117
; %bb.116:                              ;   in Loop: Header=BB4_20 Depth=1
	v_mov_b32_e32 v1, s42
	ds_write_b32 v29, v1 offset:8320
.LBB4_117:                              ;   in Loop: Header=BB4_20 Depth=1
	s_or_b64 exec, exec, s[6:7]
	v_cmp_eq_u32_e32 vcc, 0, v58
	v_cmp_lt_u32_e64 s[6:7], 63, v0
	s_and_b64 s[50:51], s[6:7], vcc
	s_waitcnt lgkmcnt(0)
	s_barrier
	s_and_saveexec_b64 s[6:7], s[50:51]
	s_cbranch_execz .LBB4_120
; %bb.118:                              ;   in Loop: Header=BB4_20 Depth=1
	v_mbcnt_lo_u32_b32 v0, exec_lo, 0
	v_mbcnt_hi_u32_b32 v0, exec_hi, v0
	v_cmp_eq_u32_e32 vcc, 0, v0
	s_and_b64 exec, exec, vcc
	s_cbranch_execz .LBB4_120
; %bb.119:                              ;   in Loop: Header=BB4_20 Depth=1
	v_mov_b32_e32 v0, s42
	ds_or_b32 v29, v0 offset:8320
.LBB4_120:                              ;   in Loop: Header=BB4_20 Depth=1
	s_or_b64 exec, exec, s[6:7]
	s_waitcnt lgkmcnt(0)
	s_barrier
	ds_read_b32 v0, v29 offset:8320
	s_waitcnt lgkmcnt(0)
	s_barrier
.LBB4_121:                              ;   in Loop: Header=BB4_20 Depth=1
	v_cmp_eq_u32_e32 vcc, 0, v0
	s_cbranch_vccnz .LBB4_125
; %bb.122:                              ;   in Loop: Header=BB4_20 Depth=1
	s_and_saveexec_b64 s[6:7], s[18:19]
	s_cbranch_execz .LBB4_124
; %bb.123:                              ;   in Loop: Header=BB4_20 Depth=1
	s_add_i32 s42, s88, 1
	v_pk_mov_b32 v[0:1], s[24:25], s[24:25] op_sel:[0,1]
	v_mov_b32_e32 v2, s42
	buffer_wbl2
	flat_store_dword v[0:1], v2 offset:640
.LBB4_124:                              ;   in Loop: Header=BB4_20 Depth=1
	s_or_b64 exec, exec, s[6:7]
	s_cbranch_execz .LBB4_126
	s_branch .LBB4_131
.LBB4_125:                              ;   in Loop: Header=BB4_20 Depth=1
.LBB4_126:                              ;   in Loop: Header=BB4_20 Depth=1
	s_and_saveexec_b64 s[6:7], s[18:19]
	s_cbranch_execz .LBB4_130
; %bb.127:                              ;   in Loop: Header=BB4_20 Depth=1
	v_pk_mov_b32 v[0:1], s[24:25], s[24:25] op_sel:[0,1]
	flat_load_dword v0, v[0:1] offset:640 glc
	s_waitcnt vmcnt(0) lgkmcnt(0)
	buffer_invl2
	buffer_wbinvl1_vol
	v_cmp_ge_u32_e32 vcc, s88, v0
	s_and_b64 exec, exec, vcc
	s_cbranch_execz .LBB4_130
; %bb.128:                              ;   in Loop: Header=BB4_20 Depth=1
	s_mov_b64 s[50:51], 0
.LBB4_129:                              ;   Parent Loop BB4_20 Depth=1
                                        ; =>  This Inner Loop Header: Depth=2
	v_pk_mov_b32 v[0:1], s[24:25], s[24:25] op_sel:[0,1]
	s_sleep 1
	flat_load_dword v0, v[0:1] offset:640 glc
	s_waitcnt vmcnt(0) lgkmcnt(0)
	buffer_invl2
	buffer_wbinvl1_vol
	v_readfirstlane_b32 s42, v0
	s_cmp_gt_u32 s42, s88
	s_cselect_b64 s[52:53], -1, 0
	s_and_b64 s[52:53], exec, s[52:53]
	s_or_b64 s[50:51], s[52:53], s[50:51]
	s_andn2_b64 exec, exec, s[50:51]
	s_cbranch_execnz .LBB4_129
.LBB4_130:                              ;   in Loop: Header=BB4_20 Depth=1
	s_or_b64 exec, exec, s[6:7]
	s_waitcnt lgkmcnt(0)
	s_barrier
.LBB4_131:                              ;   in Loop: Header=BB4_20 Depth=1
	s_mov_b64 s[50:51], -1
	v_mov_b32_e32 v2, v26
	v_pk_mov_b32 v[0:1], v[30:31], v[30:31] op_sel:[0,1]
	v_mov_b32_e32 v3, v30
	s_and_saveexec_b64 s[6:7], s[46:47]
	s_cbranch_execz .LBB4_142
; %bb.132:                              ;   in Loop: Header=BB4_20 Depth=1
	s_lshl_b32 s42, s88, 10
	s_lshl_b64 s[50:51], s[42:43], 2
	s_add_u32 s42, s40, s50
	s_addc_u32 s54, s41, s51
	v_mov_b32_e32 v2, 0
	s_and_saveexec_b64 s[50:51], s[12:13]
	s_cbranch_execz .LBB4_136
; %bb.133:                              ;   in Loop: Header=BB4_20 Depth=1
	s_mov_b32 s55, 0
	s_mov_b64 s[52:53], 0
	v_mov_b32_e32 v0, v53
	v_mov_b32_e32 v1, v32
	;; [unrolled: 1-line block ×3, first 2 shown]
.LBB4_134:                              ;   Parent Loop BB4_20 Depth=1
                                        ; =>  This Inner Loop Header: Depth=2
	v_lshlrev_b64 v[2:3], 2, v[28:29]
	v_mov_b32_e32 v35, s54
	v_add_u32_e32 v4, s77, v28
	v_mov_b32_e32 v5, v29
	v_add_co_u32_e32 v2, vcc, s42, v2
	v_addc_co_u32_e32 v3, vcc, v35, v3, vcc
	v_lshlrev_b64 v[4:5], 2, v[4:5]
	v_add_u32_e32 v6, s80, v28
	v_mov_b32_e32 v7, v29
	global_load_dwordx2 v[46:47], v[2:3], off
	v_add_co_u32_e32 v2, vcc, s42, v4
	v_lshlrev_b64 v[6:7], 2, v[6:7]
	v_addc_co_u32_e32 v3, vcc, v35, v5, vcc
	v_add_u32_e32 v8, s83, v28
	v_mov_b32_e32 v9, v29
	v_add_co_u32_e32 v4, vcc, s42, v6
	v_lshlrev_b64 v[8:9], 2, v[8:9]
	v_addc_co_u32_e32 v5, vcc, v35, v7, vcc
	v_add_u32_e32 v10, s79, v28
	v_mov_b32_e32 v11, v29
	;; [unrolled: 5-line block ×5, first 2 shown]
	v_add_co_u32_e32 v40, vcc, s42, v42
	v_lshlrev_b64 v[44:45], 2, v[44:45]
	v_addc_co_u32_e32 v41, vcc, v35, v43, vcc
	v_add_co_u32_e32 v42, vcc, s42, v44
	v_addc_co_u32_e32 v43, vcc, v35, v45, vcc
	global_load_dwordx2 v[44:45], v[2:3], off
	s_nop 0
	global_load_dwordx2 v[4:5], v[4:5], off
	s_nop 0
	global_load_dwordx2 v[6:7], v[6:7], off
	s_nop 0
	global_load_dwordx2 v[8:9], v[8:9], off
	s_nop 0
	global_load_dwordx2 v[10:11], v[10:11], off
	s_nop 0
	global_load_dwordx2 v[40:41], v[40:41], off
	s_nop 0
	global_load_dwordx2 v[42:43], v[42:43], off
	v_add_u32_e32 v3, s79, v1
	v_add_u32_e32 v35, s79, v3
	;; [unrolled: 1-line block ×3, first 2 shown]
	v_add_u32_e32 v0, -8, v0
	v_add_u32_e32 v60, s79, v39
	s_add_i32 s55, s55, 16
	v_cmp_eq_u32_e32 vcc, 0, v0
	v_add_u32_e32 v61, s79, v60
	v_add_u32_e32 v28, s82, v28
	v_mov_b32_e32 v2, s55
	s_or_b64 s[52:53], vcc, s[52:53]
	v_add_u32_e32 v62, s79, v61
	v_add_u32_e32 v63, s79, v62
	s_waitcnt vmcnt(0)
	ds_write2_b32 v1, v46, v47 offset1:1
	v_add_u32_e32 v1, s78, v1
	ds_write2_b32 v3, v44, v45 offset1:1
	ds_write2_b32 v35, v4, v5 offset1:1
	ds_write2_b32 v39, v6, v7 offset1:1
	ds_write2_b32 v60, v8, v9 offset1:1
	ds_write2_b32 v61, v10, v11 offset1:1
	ds_write2_b32 v62, v40, v41 offset1:1
	ds_write2_b32 v63, v42, v43 offset1:1
	s_andn2_b64 exec, exec, s[52:53]
	s_cbranch_execnz .LBB4_134
; %bb.135:                              ;   in Loop: Header=BB4_20 Depth=1
	s_or_b64 exec, exec, s[52:53]
.LBB4_136:                              ;   in Loop: Header=BB4_20 Depth=1
	s_or_b64 exec, exec, s[50:51]
	s_and_saveexec_b64 s[50:51], s[14:15]
	s_cbranch_execz .LBB4_139
; %bb.137:                              ;   in Loop: Header=BB4_20 Depth=1
	v_add_u32_e32 v28, v26, v2
	v_lshl_add_u32 v0, v28, 2, v59
	s_mov_b64 s[52:53], 0
	v_mov_b32_e32 v1, v52
.LBB4_138:                              ;   Parent Loop BB4_20 Depth=1
                                        ; =>  This Inner Loop Header: Depth=2
	v_lshlrev_b64 v[2:3], 2, v[28:29]
	v_mov_b32_e32 v4, s54
	v_add_co_u32_e32 v2, vcc, s42, v2
	v_addc_co_u32_e32 v3, vcc, v4, v3, vcc
	global_load_dwordx2 v[2:3], v[2:3], off
	v_add_u32_e32 v1, -1, v1
	v_cmp_eq_u32_e32 vcc, 0, v1
	v_add_u32_e32 v28, s77, v28
	s_or_b64 s[52:53], vcc, s[52:53]
	s_waitcnt vmcnt(0)
	ds_write2_b32 v0, v2, v3 offset1:1
	v_add_u32_e32 v0, s79, v0
	s_andn2_b64 exec, exec, s[52:53]
	s_cbranch_execnz .LBB4_138
.LBB4_139:                              ;   in Loop: Header=BB4_20 Depth=1
	s_or_b64 exec, exec, s[50:51]
	s_mov_b64 s[50:51], 0
                                        ; implicit-def: $vgpr0_vgpr1
                                        ; implicit-def: $vgpr3
	s_and_saveexec_b64 s[52:53], s[16:17]
	s_xor_b64 s[52:53], exec, s[52:53]
; %bb.140:                              ;   in Loop: Header=BB4_20 Depth=1
	v_mov_b32_e32 v35, v29
	s_mov_b64 s[50:51], exec
	v_lshlrev_b64 v[0:1], 2, v[34:35]
	v_lshlrev_b32_e32 v3, 2, v34
; %bb.141:                              ;   in Loop: Header=BB4_20 Depth=1
	s_or_b64 exec, exec, s[52:53]
	s_orn2_b64 s[50:51], s[50:51], exec
	v_mov_b32_e32 v2, v34
.LBB4_142:                              ;   in Loop: Header=BB4_20 Depth=1
	s_or_b64 exec, exec, s[6:7]
	s_and_saveexec_b64 s[6:7], s[50:51]
	s_cbranch_execz .LBB4_145
; %bb.143:                              ;   in Loop: Header=BB4_20 Depth=1
	v_mov_b32_e32 v4, s49
	v_add_co_u32_e32 v0, vcc, s48, v0
	v_addc_co_u32_e32 v1, vcc, v4, v1, vcc
	v_add_u32_e32 v3, 0x1080, v3
	s_mov_b64 s[50:51], 0
.LBB4_144:                              ;   Parent Loop BB4_20 Depth=1
                                        ; =>  This Inner Loop Header: Depth=2
	global_load_dword v4, v[0:1], off
	v_mov_b32_e32 v5, s81
	v_add_co_u32_e32 v0, vcc, s80, v0
	v_add_u32_e32 v2, s70, v2
	v_addc_co_u32_e32 v1, vcc, v1, v5, vcc
	v_cmp_lt_u32_e32 vcc, s87, v2
	s_or_b64 s[50:51], vcc, s[50:51]
	s_waitcnt vmcnt(0)
	ds_write_b32 v3, v4
	v_add_u32_e32 v3, s80, v3
	s_andn2_b64 exec, exec, s[50:51]
	s_cbranch_execnz .LBB4_144
.LBB4_145:                              ;   in Loop: Header=BB4_20 Depth=1
	s_or_b64 exec, exec, s[6:7]
	s_waitcnt lgkmcnt(0)
	s_barrier
	flat_load_dword v0, v[32:33] glc
	s_waitcnt vmcnt(0) lgkmcnt(0)
	ds_write_b32 v30, v0
	s_waitcnt lgkmcnt(0)
	s_barrier
	ds_read_b32 v0, v30
	s_waitcnt lgkmcnt(0)
	s_barrier
	ds_write_b32 v50, v0
	s_waitcnt lgkmcnt(0)
	s_barrier
	s_and_saveexec_b64 s[6:7], s[8:9]
	s_cbranch_execz .LBB4_147
; %bb.146:                              ;   in Loop: Header=BB4_20 Depth=1
	ds_read2_b32 v[2:3], v51 offset1:1
	ds_read2_b32 v[4:5], v51 offset0:2 offset1:3
	ds_read2_b32 v[6:7], v51 offset0:4 offset1:5
	;; [unrolled: 1-line block ×7, first 2 shown]
	s_waitcnt lgkmcnt(7)
	v_add_u32_e32 v1, v3, v2
	s_waitcnt lgkmcnt(6)
	v_add3_u32 v1, v1, v4, v5
	s_waitcnt lgkmcnt(5)
	v_add3_u32 v1, v1, v6, v7
	;; [unrolled: 2-line block ×7, first 2 shown]
	v_and_b32_e32 v28, 15, v58
	v_cmp_ne_u32_e32 vcc, 0, v28
	v_mov_b32_dpp v35, v1 row_shr:1 row_mask:0xf bank_mask:0xf
	v_cndmask_b32_e32 v35, 0, v35, vcc
	v_add_u32_e32 v1, v35, v1
	v_cmp_lt_u32_e32 vcc, 1, v28
	s_nop 0
	v_mov_b32_dpp v35, v1 row_shr:2 row_mask:0xf bank_mask:0xf
	v_cndmask_b32_e32 v35, 0, v35, vcc
	v_add_u32_e32 v1, v1, v35
	v_cmp_lt_u32_e32 vcc, 3, v28
	s_nop 0
	;; [unrolled: 5-line block ×3, first 2 shown]
	v_mov_b32_dpp v35, v1 row_shr:8 row_mask:0xf bank_mask:0xf
	v_cndmask_b32_e32 v28, 0, v35, vcc
	v_add_u32_e32 v1, v1, v28
	v_bfe_i32 v35, v58, 4, 1
	v_cmp_lt_u32_e32 vcc, 31, v58
	v_mov_b32_dpp v28, v1 row_bcast:15 row_mask:0xf bank_mask:0xf
	v_and_b32_e32 v28, v35, v28
	v_add_u32_e32 v1, v1, v28
	v_and_b32_e32 v35, 64, v58
	s_nop 0
	v_mov_b32_dpp v28, v1 row_bcast:31 row_mask:0xf bank_mask:0xf
	v_cndmask_b32_e32 v28, 0, v28, vcc
	v_add_u32_e32 v1, v1, v28
	v_add_u32_e32 v28, -1, v58
	v_cmp_lt_i32_e32 vcc, v28, v35
	v_cndmask_b32_e32 v28, v28, v58, vcc
	v_lshlrev_b32_e32 v28, 2, v28
	ds_bpermute_b32 v1, v28, v1
	s_waitcnt lgkmcnt(0)
	v_add_u32_e32 v1, v1, v2
	v_cndmask_b32_e64 v0, v1, v0, s[18:19]
	v_add_u32_e32 v1, v0, v3
	ds_write2_b32 v51, v0, v1 offset1:1
	v_add_u32_e32 v0, v1, v4
	v_add_u32_e32 v1, v0, v5
	ds_write2_b32 v51, v0, v1 offset0:2 offset1:3
	v_add_u32_e32 v0, v1, v6
	v_add_u32_e32 v1, v0, v7
	ds_write2_b32 v51, v0, v1 offset0:4 offset1:5
	;; [unrolled: 3-line block ×7, first 2 shown]
.LBB4_147:                              ;   in Loop: Header=BB4_20 Depth=1
	s_or_b64 exec, exec, s[6:7]
	s_waitcnt lgkmcnt(0)
	s_barrier
	ds_read_b32 v0, v50
	s_waitcnt lgkmcnt(0)
	s_barrier
	s_mov_b64 s[50:51], 0
	ds_write_b32 v30, v0
	s_waitcnt lgkmcnt(0)
	s_barrier
	ds_read_b32 v0, v30
	v_mov_b32_e32 v3, v54
	v_mov_b32_e32 v4, v26
	s_waitcnt lgkmcnt(0)
	flat_store_dword v[32:33], v0
	s_waitcnt vmcnt(0) lgkmcnt(0)
	s_barrier
	ds_read_b32 v0, v29 offset:8576
	s_branch .LBB4_149
.LBB4_148:                              ;   in Loop: Header=BB4_149 Depth=2
	s_or_b64 exec, exec, s[6:7]
	v_add_u32_e32 v4, s70, v4
	v_cmp_lt_u32_e32 vcc, s87, v4
	s_or_b64 s[50:51], vcc, s[50:51]
	v_add_u32_e32 v3, s80, v3
	s_andn2_b64 exec, exec, s[50:51]
	s_cbranch_execz .LBB4_153
.LBB4_149:                              ;   Parent Loop BB4_20 Depth=1
                                        ; =>  This Inner Loop Header: Depth=2
	v_cmp_ne_u32_e32 vcc, 0, v4
	v_mov_b32_e32 v2, 0
	s_and_saveexec_b64 s[6:7], vcc
	s_cbranch_execz .LBB4_151
; %bb.150:                              ;   in Loop: Header=BB4_149 Depth=2
	ds_read_b32 v2, v3
.LBB4_151:                              ;   in Loop: Header=BB4_149 Depth=2
	s_or_b64 exec, exec, s[6:7]
	ds_read_b32 v5, v3 offset:4
	s_waitcnt lgkmcnt(1)
	v_cmp_gt_i32_e32 vcc, v38, v2
	s_waitcnt lgkmcnt(0)
	v_cmp_ge_i32_e64 s[6:7], v5, v38
	s_and_b64 s[52:53], vcc, s[6:7]
	s_and_saveexec_b64 s[6:7], s[52:53]
	s_cbranch_execz .LBB4_148
; %bb.152:                              ;   in Loop: Header=BB4_149 Depth=2
	v_sub_u32_e32 v1, v38, v2
	v_sub_u32_e32 v2, v5, v2
	v_lshl_or_b32 v0, v4, s56, v0
	ds_write_b96 v29, v[0:2] offset:8576
	s_branch .LBB4_148
.LBB4_153:                              ;   in Loop: Header=BB4_20 Depth=1
	s_or_b64 exec, exec, s[50:51]
	s_cmp_eq_u32 s88, 3
	s_waitcnt lgkmcnt(0)
	s_barrier
	s_cbranch_scc0 .LBB4_638
; %bb.154:                              ;   in Loop: Header=BB4_20 Depth=1
	ds_read_b64 v[38:39], v29 offset:8576
	s_and_saveexec_b64 s[6:7], s[10:11]
	s_cbranch_execz .LBB4_156
; %bb.155:                              ;   in Loop: Header=BB4_20 Depth=1
	s_waitcnt lgkmcnt(0)
	global_store_dword v29, v39, s[24:25]
	global_store_dword v29, v38, s[24:25] offset:12
.LBB4_156:                              ;   in Loop: Header=BB4_20 Depth=1
	s_or_b64 exec, exec, s[6:7]
	v_mov_b32_e32 v40, v24
	s_and_saveexec_b64 s[6:7], s[4:5]
	s_cbranch_execz .LBB4_512
; %bb.157:                              ;   in Loop: Header=BB4_20 Depth=1
	s_mov_b64 s[50:51], 0
	v_pk_mov_b32 v[42:43], v[22:23], v[22:23] op_sel:[0,1]
	v_pk_mov_b32 v[40:41], v[20:21], v[20:21] op_sel:[0,1]
	s_branch .LBB4_159
.LBB4_158:                              ;   in Loop: Header=BB4_159 Depth=2
	s_or_b64 exec, exec, s[52:53]
	v_add_u32_e32 v40, s61, v40
	v_ashrrev_i32_e32 v41, 31, v40
	v_mov_b32_e32 v0, s67
	v_add_co_u32_e32 v42, vcc, s68, v40
	v_addc_co_u32_e32 v43, vcc, v0, v41, vcc
	v_cmp_le_u64_e32 vcc, s[30:31], v[42:43]
	s_or_b64 s[50:51], vcc, s[50:51]
	s_andn2_b64 exec, exec, s[50:51]
	s_cbranch_execz .LBB4_511
.LBB4_159:                              ;   Parent Loop BB4_20 Depth=1
                                        ; =>  This Inner Loop Header: Depth=2
	v_lshlrev_b64 v[0:1], 4, v[40:41]
	s_waitcnt vmcnt(0)
	v_mov_b32_e32 v2, s66
	v_add_co_u32_e32 v4, vcc, s60, v0
	v_addc_co_u32_e32 v5, vcc, v2, v1, vcc
	global_load_dwordx4 v[0:3], v[4:5], off
	v_mov_b32_e32 v6, s37
	v_add_co_u32_e32 v8, vcc, s36, v4
	v_addc_co_u32_e32 v9, vcc, v5, v6, vcc
	global_load_dwordx4 v[4:7], v[8:9], off
	v_lshl_add_u32 v10, v40, 2, s34
	s_mov_b64 s[54:55], 0
                                        ; implicit-def: $vgpr44
	s_waitcnt vmcnt(1)
	v_cmp_gt_i32_e32 vcc, 0, v0
	v_cndmask_b32_e64 v11, v57, 0, vcc
	v_xor_b32_e32 v11, v11, v0
	s_waitcnt lgkmcnt(0)
	v_cmp_ge_u32_e32 vcc, v11, v38
                                        ; implicit-def: $vgpr0
	s_and_saveexec_b64 s[52:53], vcc
	s_xor_b64 s[52:53], exec, s[52:53]
	s_cbranch_execz .LBB4_166
; %bb.160:                              ;   in Loop: Header=BB4_159 Depth=2
	v_cmp_eq_u32_e32 vcc, v11, v38
	s_mov_b64 s[56:57], 0
                                        ; implicit-def: $vgpr0
                                        ; implicit-def: $vgpr44
	s_and_saveexec_b64 s[54:55], vcc
	s_cbranch_execz .LBB4_178
; %bb.161:                              ;   in Loop: Header=BB4_159 Depth=2
	s_mov_b64 s[58:59], exec
	v_mbcnt_lo_u32_b32 v0, s58, 0
	v_mbcnt_hi_u32_b32 v0, s59, v0
	v_cmp_eq_u32_e32 vcc, 0, v0
                                        ; implicit-def: $vgpr11
	s_and_saveexec_b64 s[56:57], vcc
	s_cbranch_execz .LBB4_163
; %bb.162:                              ;   in Loop: Header=BB4_159 Depth=2
	s_bcnt1_i32_b64 s42, s[58:59]
	v_mov_b32_e32 v11, s42
	global_atomic_add v11, v29, v11, s[24:25] offset:512 glc
.LBB4_163:                              ;   in Loop: Header=BB4_159 Depth=2
	s_or_b64 exec, exec, s[56:57]
	s_waitcnt vmcnt(0)
	v_readfirstlane_b32 s42, v11
	v_add_u32_e32 v11, s42, v0
	v_cmp_lt_i32_e32 vcc, v11, v39
	s_mov_b64 s[58:59], 0
                                        ; implicit-def: $vgpr0
                                        ; implicit-def: $vgpr44
	s_and_saveexec_b64 s[56:57], vcc
	s_xor_b64 s[56:57], exec, s[56:57]
	s_cbranch_execz .LBB4_177
; %bb.164:                              ;   in Loop: Header=BB4_159 Depth=2
	s_andn2_b64 vcc, exec, s[26:27]
	v_xad_u32 v44, v11, -1, s69
	s_cbranch_vccnz .LBB4_174
; %bb.165:                              ;   in Loop: Header=BB4_159 Depth=2
	v_ashrrev_i32_e32 v11, 31, v10
	v_lshlrev_b64 v[46:47], 2, v[10:11]
	v_mov_b32_e32 v0, s23
	v_add_co_u32_e32 v46, vcc, s22, v46
	v_addc_co_u32_e32 v47, vcc, v0, v47, vcc
	global_load_dword v0, v[46:47], off
	s_andn2_b64 vcc, exec, s[58:59]
	s_cbranch_vccz .LBB4_175
	s_branch .LBB4_176
.LBB4_166:                              ;   in Loop: Header=BB4_159 Depth=2
	s_andn2_saveexec_b64 s[52:53], s[52:53]
	s_cbranch_execz .LBB4_179
.LBB4_167:                              ;   in Loop: Header=BB4_159 Depth=2
	s_mov_b64 s[58:59], exec
	s_waitcnt vmcnt(0)
	v_mbcnt_lo_u32_b32 v0, s58, 0
	v_mbcnt_hi_u32_b32 v0, s59, v0
	v_cmp_eq_u32_e32 vcc, 0, v0
                                        ; implicit-def: $vgpr11
	s_and_saveexec_b64 s[56:57], vcc
	s_cbranch_execz .LBB4_169
; %bb.168:                              ;   in Loop: Header=BB4_159 Depth=2
	s_bcnt1_i32_b64 s42, s[58:59]
	v_mov_b32_e32 v11, s42
	global_atomic_add v11, v29, v11, s[24:25] offset:384 glc
.LBB4_169:                              ;   in Loop: Header=BB4_159 Depth=2
	s_or_b64 exec, exec, s[56:57]
	s_waitcnt vmcnt(0)
	v_readfirstlane_b32 s42, v11
	s_andn2_b64 vcc, exec, s[26:27]
	v_add_u32_e32 v44, s42, v0
	s_cbranch_vccnz .LBB4_171
; %bb.170:                              ;   in Loop: Header=BB4_159 Depth=2
	v_ashrrev_i32_e32 v11, 31, v10
	v_lshlrev_b64 v[46:47], 2, v[10:11]
	v_mov_b32_e32 v0, s23
	v_add_co_u32_e32 v46, vcc, s22, v46
	v_addc_co_u32_e32 v47, vcc, v0, v47, vcc
	global_load_dword v0, v[46:47], off
	s_cbranch_execz .LBB4_172
	s_branch .LBB4_173
.LBB4_171:                              ;   in Loop: Header=BB4_159 Depth=2
                                        ; implicit-def: $vgpr0
.LBB4_172:                              ;   in Loop: Header=BB4_159 Depth=2
	s_waitcnt vmcnt(0)
	v_add_u32_e32 v0, s20, v10
.LBB4_173:                              ;   in Loop: Header=BB4_159 Depth=2
	s_or_b64 s[54:55], s[54:55], exec
	s_or_b64 exec, exec, s[52:53]
	s_and_saveexec_b64 s[52:53], s[54:55]
	s_cbranch_execnz .LBB4_180
	s_branch .LBB4_181
.LBB4_174:                              ;   in Loop: Header=BB4_159 Depth=2
                                        ; implicit-def: $vgpr0
.LBB4_175:                              ;   in Loop: Header=BB4_159 Depth=2
	s_waitcnt vmcnt(0)
	v_add_u32_e32 v0, s20, v10
.LBB4_176:                              ;   in Loop: Header=BB4_159 Depth=2
	s_mov_b64 s[58:59], exec
.LBB4_177:                              ;   in Loop: Header=BB4_159 Depth=2
	s_or_b64 exec, exec, s[56:57]
	s_and_b64 s[56:57], s[58:59], exec
.LBB4_178:                              ;   in Loop: Header=BB4_159 Depth=2
	s_or_b64 exec, exec, s[54:55]
	s_and_b64 s[54:55], s[56:57], exec
	s_andn2_saveexec_b64 s[52:53], s[52:53]
	s_cbranch_execnz .LBB4_167
.LBB4_179:                              ;   in Loop: Header=BB4_159 Depth=2
	s_or_b64 exec, exec, s[52:53]
	s_and_saveexec_b64 s[52:53], s[54:55]
	s_cbranch_execz .LBB4_181
.LBB4_180:                              ;   in Loop: Header=BB4_159 Depth=2
	v_ashrrev_i32_e32 v45, 31, v44
	v_lshlrev_b64 v[44:45], 2, v[44:45]
	v_mov_b32_e32 v11, s33
	v_add_co_u32_e32 v44, vcc, s21, v44
	v_addc_co_u32_e32 v45, vcc, v11, v45, vcc
	s_waitcnt vmcnt(0)
	global_store_dword v[44:45], v0, off
.LBB4_181:                              ;   in Loop: Header=BB4_159 Depth=2
	s_or_b64 exec, exec, s[52:53]
	v_cmp_gt_i32_e32 vcc, 0, v1
	s_waitcnt vmcnt(0)
	v_cndmask_b32_e64 v0, v57, 0, vcc
	v_xor_b32_e32 v1, v0, v1
	v_add_u32_e32 v28, 1, v10
	v_cmp_ge_u32_e32 vcc, v1, v38
	s_mov_b64 s[54:55], 0
                                        ; implicit-def: $vgpr11
                                        ; implicit-def: $vgpr0
	s_and_saveexec_b64 s[52:53], vcc
	s_xor_b64 s[52:53], exec, s[52:53]
	s_cbranch_execz .LBB4_188
; %bb.182:                              ;   in Loop: Header=BB4_159 Depth=2
	v_cmp_eq_u32_e32 vcc, v1, v38
	s_mov_b64 s[56:57], 0
                                        ; implicit-def: $vgpr11
                                        ; implicit-def: $vgpr0
	s_and_saveexec_b64 s[54:55], vcc
	s_cbranch_execz .LBB4_200
; %bb.183:                              ;   in Loop: Header=BB4_159 Depth=2
	s_mov_b64 s[58:59], exec
	v_mbcnt_lo_u32_b32 v0, s58, 0
	v_mbcnt_hi_u32_b32 v0, s59, v0
	v_cmp_eq_u32_e32 vcc, 0, v0
                                        ; implicit-def: $vgpr1
	s_and_saveexec_b64 s[56:57], vcc
	s_cbranch_execz .LBB4_185
; %bb.184:                              ;   in Loop: Header=BB4_159 Depth=2
	s_bcnt1_i32_b64 s42, s[58:59]
	v_mov_b32_e32 v1, s42
	global_atomic_add v1, v29, v1, s[24:25] offset:512 glc
.LBB4_185:                              ;   in Loop: Header=BB4_159 Depth=2
	s_or_b64 exec, exec, s[56:57]
	s_waitcnt vmcnt(0)
	v_readfirstlane_b32 s42, v1
	v_add_u32_e32 v1, s42, v0
	v_cmp_lt_i32_e32 vcc, v1, v39
	s_mov_b64 s[58:59], 0
                                        ; implicit-def: $vgpr11
                                        ; implicit-def: $vgpr0
	s_and_saveexec_b64 s[56:57], vcc
	s_cbranch_execz .LBB4_199
; %bb.186:                              ;   in Loop: Header=BB4_159 Depth=2
	s_andn2_b64 vcc, exec, s[26:27]
	v_xad_u32 v0, v1, -1, s69
	s_cbranch_vccnz .LBB4_196
; %bb.187:                              ;   in Loop: Header=BB4_159 Depth=2
	v_ashrrev_i32_e32 v11, 31, v10
	v_lshlrev_b64 v[44:45], 2, v[10:11]
	v_mov_b32_e32 v1, s35
	v_add_co_u32_e32 v44, vcc, s29, v44
	v_addc_co_u32_e32 v45, vcc, v1, v45, vcc
	global_load_dword v11, v[44:45], off
	s_andn2_b64 vcc, exec, s[58:59]
	s_cbranch_vccz .LBB4_197
	s_branch .LBB4_198
.LBB4_188:                              ;   in Loop: Header=BB4_159 Depth=2
	s_andn2_saveexec_b64 s[52:53], s[52:53]
	s_cbranch_execz .LBB4_201
.LBB4_189:                              ;   in Loop: Header=BB4_159 Depth=2
	s_mov_b64 s[58:59], exec
	v_mbcnt_lo_u32_b32 v0, s58, 0
	v_mbcnt_hi_u32_b32 v0, s59, v0
	v_cmp_eq_u32_e32 vcc, 0, v0
                                        ; implicit-def: $vgpr1
	s_and_saveexec_b64 s[56:57], vcc
	s_cbranch_execz .LBB4_191
; %bb.190:                              ;   in Loop: Header=BB4_159 Depth=2
	s_bcnt1_i32_b64 s42, s[58:59]
	v_mov_b32_e32 v1, s42
	global_atomic_add v1, v29, v1, s[24:25] offset:384 glc
.LBB4_191:                              ;   in Loop: Header=BB4_159 Depth=2
	s_or_b64 exec, exec, s[56:57]
	s_waitcnt vmcnt(0)
	v_readfirstlane_b32 s42, v1
	s_andn2_b64 vcc, exec, s[26:27]
	v_add_u32_e32 v0, s42, v0
	s_cbranch_vccnz .LBB4_193
; %bb.192:                              ;   in Loop: Header=BB4_159 Depth=2
	v_ashrrev_i32_e32 v11, 31, v10
	v_lshlrev_b64 v[44:45], 2, v[10:11]
	v_mov_b32_e32 v1, s35
	v_add_co_u32_e32 v44, vcc, s29, v44
	v_addc_co_u32_e32 v45, vcc, v1, v45, vcc
	global_load_dword v11, v[44:45], off
	s_cbranch_execz .LBB4_194
	s_branch .LBB4_195
.LBB4_193:                              ;   in Loop: Header=BB4_159 Depth=2
                                        ; implicit-def: $vgpr11
.LBB4_194:                              ;   in Loop: Header=BB4_159 Depth=2
	s_waitcnt vmcnt(0)
	v_add_u32_e32 v11, s20, v28
.LBB4_195:                              ;   in Loop: Header=BB4_159 Depth=2
	s_or_b64 s[54:55], s[54:55], exec
	s_or_b64 exec, exec, s[52:53]
	s_and_saveexec_b64 s[52:53], s[54:55]
	s_cbranch_execnz .LBB4_202
	s_branch .LBB4_203
.LBB4_196:                              ;   in Loop: Header=BB4_159 Depth=2
                                        ; implicit-def: $vgpr11
.LBB4_197:                              ;   in Loop: Header=BB4_159 Depth=2
	s_waitcnt vmcnt(0)
	v_add_u32_e32 v11, s20, v28
.LBB4_198:                              ;   in Loop: Header=BB4_159 Depth=2
	s_mov_b64 s[58:59], exec
.LBB4_199:                              ;   in Loop: Header=BB4_159 Depth=2
	s_or_b64 exec, exec, s[56:57]
	s_and_b64 s[56:57], s[58:59], exec
.LBB4_200:                              ;   in Loop: Header=BB4_159 Depth=2
	s_or_b64 exec, exec, s[54:55]
	s_and_b64 s[54:55], s[56:57], exec
                                        ; implicit-def: $vgpr28
	s_andn2_saveexec_b64 s[52:53], s[52:53]
	s_cbranch_execnz .LBB4_189
.LBB4_201:                              ;   in Loop: Header=BB4_159 Depth=2
	s_or_b64 exec, exec, s[52:53]
	s_and_saveexec_b64 s[52:53], s[54:55]
	s_cbranch_execz .LBB4_203
.LBB4_202:                              ;   in Loop: Header=BB4_159 Depth=2
	v_ashrrev_i32_e32 v1, 31, v0
	v_lshlrev_b64 v[0:1], 2, v[0:1]
	v_mov_b32_e32 v28, s33
	v_add_co_u32_e32 v0, vcc, s21, v0
	v_addc_co_u32_e32 v1, vcc, v28, v1, vcc
	s_waitcnt vmcnt(0)
	global_store_dword v[0:1], v11, off
.LBB4_203:                              ;   in Loop: Header=BB4_159 Depth=2
	s_or_b64 exec, exec, s[52:53]
	v_cmp_gt_i32_e32 vcc, 0, v2
	v_cndmask_b32_e64 v0, v57, 0, vcc
	s_waitcnt vmcnt(0)
	v_xor_b32_e32 v11, v0, v2
	v_add_u32_e32 v1, 2, v10
	v_cmp_ge_u32_e32 vcc, v11, v38
	s_mov_b64 s[54:55], 0
                                        ; implicit-def: $vgpr2
                                        ; implicit-def: $vgpr0
	s_and_saveexec_b64 s[52:53], vcc
	s_xor_b64 s[52:53], exec, s[52:53]
	s_cbranch_execz .LBB4_210
; %bb.204:                              ;   in Loop: Header=BB4_159 Depth=2
	v_cmp_eq_u32_e32 vcc, v11, v38
	s_mov_b64 s[56:57], 0
                                        ; implicit-def: $vgpr2
                                        ; implicit-def: $vgpr0
	s_and_saveexec_b64 s[54:55], vcc
	s_cbranch_execz .LBB4_222
; %bb.205:                              ;   in Loop: Header=BB4_159 Depth=2
	s_mov_b64 s[58:59], exec
	v_mbcnt_lo_u32_b32 v0, s58, 0
	v_mbcnt_hi_u32_b32 v0, s59, v0
	v_cmp_eq_u32_e32 vcc, 0, v0
                                        ; implicit-def: $vgpr2
	s_and_saveexec_b64 s[56:57], vcc
	s_cbranch_execz .LBB4_207
; %bb.206:                              ;   in Loop: Header=BB4_159 Depth=2
	s_bcnt1_i32_b64 s42, s[58:59]
	v_mov_b32_e32 v2, s42
	global_atomic_add v2, v29, v2, s[24:25] offset:512 glc
.LBB4_207:                              ;   in Loop: Header=BB4_159 Depth=2
	s_or_b64 exec, exec, s[56:57]
	s_waitcnt vmcnt(0)
	v_readfirstlane_b32 s42, v2
	v_add_u32_e32 v11, s42, v0
	v_cmp_lt_i32_e32 vcc, v11, v39
	s_mov_b64 s[58:59], 0
                                        ; implicit-def: $vgpr2
                                        ; implicit-def: $vgpr0
	s_and_saveexec_b64 s[56:57], vcc
	s_cbranch_execz .LBB4_221
; %bb.208:                              ;   in Loop: Header=BB4_159 Depth=2
	s_andn2_b64 vcc, exec, s[26:27]
	v_xad_u32 v0, v11, -1, s69
	s_cbranch_vccnz .LBB4_218
; %bb.209:                              ;   in Loop: Header=BB4_159 Depth=2
	v_ashrrev_i32_e32 v11, 31, v10
	v_lshlrev_b64 v[44:45], 2, v[10:11]
	v_mov_b32_e32 v2, s63
	v_add_co_u32_e32 v44, vcc, s62, v44
	v_addc_co_u32_e32 v45, vcc, v2, v45, vcc
	global_load_dword v2, v[44:45], off
	s_andn2_b64 vcc, exec, s[58:59]
	s_cbranch_vccz .LBB4_219
	s_branch .LBB4_220
.LBB4_210:                              ;   in Loop: Header=BB4_159 Depth=2
	s_andn2_saveexec_b64 s[52:53], s[52:53]
	s_cbranch_execz .LBB4_223
.LBB4_211:                              ;   in Loop: Header=BB4_159 Depth=2
	s_mov_b64 s[58:59], exec
	v_mbcnt_lo_u32_b32 v0, s58, 0
	v_mbcnt_hi_u32_b32 v0, s59, v0
	v_cmp_eq_u32_e32 vcc, 0, v0
                                        ; implicit-def: $vgpr2
	s_and_saveexec_b64 s[56:57], vcc
	s_cbranch_execz .LBB4_213
; %bb.212:                              ;   in Loop: Header=BB4_159 Depth=2
	s_bcnt1_i32_b64 s42, s[58:59]
	s_waitcnt vmcnt(0)
	v_mov_b32_e32 v2, s42
	global_atomic_add v2, v29, v2, s[24:25] offset:384 glc
.LBB4_213:                              ;   in Loop: Header=BB4_159 Depth=2
	s_or_b64 exec, exec, s[56:57]
	s_waitcnt vmcnt(0)
	v_readfirstlane_b32 s42, v2
	s_andn2_b64 vcc, exec, s[26:27]
	v_add_u32_e32 v0, s42, v0
	s_cbranch_vccnz .LBB4_215
; %bb.214:                              ;   in Loop: Header=BB4_159 Depth=2
	v_ashrrev_i32_e32 v11, 31, v10
	v_lshlrev_b64 v[44:45], 2, v[10:11]
	v_mov_b32_e32 v2, s63
	v_add_co_u32_e32 v44, vcc, s62, v44
	v_addc_co_u32_e32 v45, vcc, v2, v45, vcc
	global_load_dword v2, v[44:45], off
	s_cbranch_execz .LBB4_216
	s_branch .LBB4_217
.LBB4_215:                              ;   in Loop: Header=BB4_159 Depth=2
                                        ; implicit-def: $vgpr2
.LBB4_216:                              ;   in Loop: Header=BB4_159 Depth=2
	s_waitcnt vmcnt(0)
	v_add_u32_e32 v2, s20, v1
.LBB4_217:                              ;   in Loop: Header=BB4_159 Depth=2
	s_or_b64 s[54:55], s[54:55], exec
	s_or_b64 exec, exec, s[52:53]
	s_and_saveexec_b64 s[52:53], s[54:55]
	s_cbranch_execnz .LBB4_224
	s_branch .LBB4_225
.LBB4_218:                              ;   in Loop: Header=BB4_159 Depth=2
                                        ; implicit-def: $vgpr2
.LBB4_219:                              ;   in Loop: Header=BB4_159 Depth=2
	s_waitcnt vmcnt(0)
	v_add_u32_e32 v2, s20, v1
.LBB4_220:                              ;   in Loop: Header=BB4_159 Depth=2
	s_mov_b64 s[58:59], exec
.LBB4_221:                              ;   in Loop: Header=BB4_159 Depth=2
	s_or_b64 exec, exec, s[56:57]
	s_and_b64 s[56:57], s[58:59], exec
.LBB4_222:                              ;   in Loop: Header=BB4_159 Depth=2
	s_or_b64 exec, exec, s[54:55]
	s_and_b64 s[54:55], s[56:57], exec
                                        ; implicit-def: $vgpr1
	s_andn2_saveexec_b64 s[52:53], s[52:53]
	s_cbranch_execnz .LBB4_211
.LBB4_223:                              ;   in Loop: Header=BB4_159 Depth=2
	s_or_b64 exec, exec, s[52:53]
	s_and_saveexec_b64 s[52:53], s[54:55]
	s_cbranch_execz .LBB4_225
.LBB4_224:                              ;   in Loop: Header=BB4_159 Depth=2
	v_ashrrev_i32_e32 v1, 31, v0
	v_lshlrev_b64 v[0:1], 2, v[0:1]
	v_mov_b32_e32 v11, s33
	v_add_co_u32_e32 v0, vcc, s21, v0
	v_addc_co_u32_e32 v1, vcc, v11, v1, vcc
	s_waitcnt vmcnt(0)
	global_store_dword v[0:1], v2, off
.LBB4_225:                              ;   in Loop: Header=BB4_159 Depth=2
	s_or_b64 exec, exec, s[52:53]
	v_cmp_gt_i32_e32 vcc, 0, v3
	v_cndmask_b32_e64 v0, v57, 0, vcc
	v_xor_b32_e32 v3, v0, v3
	v_add_u32_e32 v1, 3, v10
	v_cmp_ge_u32_e32 vcc, v3, v38
	s_mov_b64 s[54:55], 0
                                        ; implicit-def: $vgpr2
                                        ; implicit-def: $vgpr0
	s_and_saveexec_b64 s[52:53], vcc
	s_xor_b64 s[52:53], exec, s[52:53]
	s_cbranch_execz .LBB4_232
; %bb.226:                              ;   in Loop: Header=BB4_159 Depth=2
	v_cmp_eq_u32_e32 vcc, v3, v38
	s_mov_b64 s[56:57], 0
                                        ; implicit-def: $vgpr2
                                        ; implicit-def: $vgpr0
	s_and_saveexec_b64 s[54:55], vcc
	s_cbranch_execz .LBB4_244
; %bb.227:                              ;   in Loop: Header=BB4_159 Depth=2
	s_mov_b64 s[58:59], exec
	v_mbcnt_lo_u32_b32 v0, s58, 0
	v_mbcnt_hi_u32_b32 v0, s59, v0
	v_cmp_eq_u32_e32 vcc, 0, v0
                                        ; implicit-def: $vgpr2
	s_and_saveexec_b64 s[56:57], vcc
	s_cbranch_execz .LBB4_229
; %bb.228:                              ;   in Loop: Header=BB4_159 Depth=2
	s_bcnt1_i32_b64 s42, s[58:59]
	s_waitcnt vmcnt(0)
	v_mov_b32_e32 v2, s42
	global_atomic_add v2, v29, v2, s[24:25] offset:512 glc
.LBB4_229:                              ;   in Loop: Header=BB4_159 Depth=2
	s_or_b64 exec, exec, s[56:57]
	s_waitcnt vmcnt(0)
	v_readfirstlane_b32 s42, v2
	v_add_u32_e32 v3, s42, v0
	v_cmp_lt_i32_e32 vcc, v3, v39
	s_mov_b64 s[58:59], 0
                                        ; implicit-def: $vgpr2
                                        ; implicit-def: $vgpr0
	s_and_saveexec_b64 s[56:57], vcc
	s_cbranch_execz .LBB4_243
; %bb.230:                              ;   in Loop: Header=BB4_159 Depth=2
	s_andn2_b64 vcc, exec, s[26:27]
	v_xad_u32 v0, v3, -1, s69
	s_cbranch_vccnz .LBB4_240
; %bb.231:                              ;   in Loop: Header=BB4_159 Depth=2
	v_ashrrev_i32_e32 v11, 31, v10
	v_lshlrev_b64 v[2:3], 2, v[10:11]
	v_mov_b32_e32 v10, s65
	v_add_co_u32_e32 v2, vcc, s64, v2
	v_addc_co_u32_e32 v3, vcc, v10, v3, vcc
	global_load_dword v2, v[2:3], off
	s_andn2_b64 vcc, exec, s[58:59]
	s_cbranch_vccz .LBB4_241
	s_branch .LBB4_242
.LBB4_232:                              ;   in Loop: Header=BB4_159 Depth=2
	s_andn2_saveexec_b64 s[52:53], s[52:53]
	s_cbranch_execz .LBB4_245
.LBB4_233:                              ;   in Loop: Header=BB4_159 Depth=2
	s_mov_b64 s[58:59], exec
	v_mbcnt_lo_u32_b32 v0, s58, 0
	v_mbcnt_hi_u32_b32 v0, s59, v0
	v_cmp_eq_u32_e32 vcc, 0, v0
                                        ; implicit-def: $vgpr2
	s_and_saveexec_b64 s[56:57], vcc
	s_cbranch_execz .LBB4_235
; %bb.234:                              ;   in Loop: Header=BB4_159 Depth=2
	s_bcnt1_i32_b64 s42, s[58:59]
	s_waitcnt vmcnt(0)
	v_mov_b32_e32 v2, s42
	global_atomic_add v2, v29, v2, s[24:25] offset:384 glc
.LBB4_235:                              ;   in Loop: Header=BB4_159 Depth=2
	s_or_b64 exec, exec, s[56:57]
	s_waitcnt vmcnt(0)
	v_readfirstlane_b32 s42, v2
	s_andn2_b64 vcc, exec, s[26:27]
	v_add_u32_e32 v0, s42, v0
	s_cbranch_vccnz .LBB4_237
; %bb.236:                              ;   in Loop: Header=BB4_159 Depth=2
	v_ashrrev_i32_e32 v11, 31, v10
	v_lshlrev_b64 v[2:3], 2, v[10:11]
	v_mov_b32_e32 v10, s65
	v_add_co_u32_e32 v2, vcc, s64, v2
	v_addc_co_u32_e32 v3, vcc, v10, v3, vcc
	global_load_dword v2, v[2:3], off
	s_cbranch_execz .LBB4_238
	s_branch .LBB4_239
.LBB4_237:                              ;   in Loop: Header=BB4_159 Depth=2
                                        ; implicit-def: $vgpr2
.LBB4_238:                              ;   in Loop: Header=BB4_159 Depth=2
	s_waitcnt vmcnt(0)
	v_add_u32_e32 v2, s20, v1
.LBB4_239:                              ;   in Loop: Header=BB4_159 Depth=2
	s_or_b64 s[54:55], s[54:55], exec
	s_or_b64 exec, exec, s[52:53]
	s_and_saveexec_b64 s[52:53], s[54:55]
	s_cbranch_execnz .LBB4_246
	s_branch .LBB4_247
.LBB4_240:                              ;   in Loop: Header=BB4_159 Depth=2
                                        ; implicit-def: $vgpr2
.LBB4_241:                              ;   in Loop: Header=BB4_159 Depth=2
	s_waitcnt vmcnt(0)
	v_add_u32_e32 v2, s20, v1
.LBB4_242:                              ;   in Loop: Header=BB4_159 Depth=2
	s_mov_b64 s[58:59], exec
.LBB4_243:                              ;   in Loop: Header=BB4_159 Depth=2
	s_or_b64 exec, exec, s[56:57]
	s_and_b64 s[56:57], s[58:59], exec
.LBB4_244:                              ;   in Loop: Header=BB4_159 Depth=2
	s_or_b64 exec, exec, s[54:55]
	s_and_b64 s[54:55], s[56:57], exec
                                        ; implicit-def: $vgpr1
                                        ; implicit-def: $vgpr10
	s_andn2_saveexec_b64 s[52:53], s[52:53]
	s_cbranch_execnz .LBB4_233
.LBB4_245:                              ;   in Loop: Header=BB4_159 Depth=2
	s_or_b64 exec, exec, s[52:53]
	s_and_saveexec_b64 s[52:53], s[54:55]
	s_cbranch_execz .LBB4_247
.LBB4_246:                              ;   in Loop: Header=BB4_159 Depth=2
	v_ashrrev_i32_e32 v1, 31, v0
	v_lshlrev_b64 v[0:1], 2, v[0:1]
	v_mov_b32_e32 v3, s33
	v_add_co_u32_e32 v0, vcc, s21, v0
	v_addc_co_u32_e32 v1, vcc, v3, v1, vcc
	s_waitcnt vmcnt(0)
	global_store_dword v[0:1], v2, off
.LBB4_247:                              ;   in Loop: Header=BB4_159 Depth=2
	s_or_b64 exec, exec, s[52:53]
	v_mov_b32_e32 v1, s37
	v_add_co_u32_e32 v0, vcc, s36, v8
	v_addc_co_u32_e32 v1, vcc, v9, v1, vcc
	s_waitcnt vmcnt(0)
	v_lshlrev_b64 v[2:3], 4, v[42:43]
	v_mov_b32_e32 v8, s66
	v_add_co_u32_e32 v2, vcc, s60, v2
	v_addc_co_u32_e32 v3, vcc, v8, v3, vcc
	global_load_dwordx4 v[8:11], v[0:1], off
	s_nop 0
	global_load_dwordx4 v[0:3], v[2:3], off
	v_add_co_u32_e32 v28, vcc, s28, v40
	v_cmp_gt_i32_e32 vcc, 0, v4
	v_cndmask_b32_e64 v35, v57, 0, vcc
	v_xor_b32_e32 v35, v35, v4
	v_lshl_add_u32 v44, v28, 2, s34
	v_cmp_ge_u32_e32 vcc, v35, v38
	s_mov_b64 s[54:55], 0
                                        ; implicit-def: $vgpr4
                                        ; implicit-def: $vgpr46
	s_and_saveexec_b64 s[52:53], vcc
	s_xor_b64 s[52:53], exec, s[52:53]
	s_cbranch_execz .LBB4_254
; %bb.248:                              ;   in Loop: Header=BB4_159 Depth=2
	v_cmp_eq_u32_e32 vcc, v35, v38
	s_mov_b64 s[56:57], 0
                                        ; implicit-def: $vgpr4
                                        ; implicit-def: $vgpr46
	s_and_saveexec_b64 s[54:55], vcc
	s_cbranch_execz .LBB4_266
; %bb.249:                              ;   in Loop: Header=BB4_159 Depth=2
	s_mov_b64 s[58:59], exec
	v_mbcnt_lo_u32_b32 v4, s58, 0
	v_mbcnt_hi_u32_b32 v4, s59, v4
	v_cmp_eq_u32_e32 vcc, 0, v4
                                        ; implicit-def: $vgpr35
	s_and_saveexec_b64 s[56:57], vcc
	s_cbranch_execz .LBB4_251
; %bb.250:                              ;   in Loop: Header=BB4_159 Depth=2
	s_bcnt1_i32_b64 s42, s[58:59]
	v_mov_b32_e32 v35, s42
	global_atomic_add v35, v29, v35, s[24:25] offset:512 glc
.LBB4_251:                              ;   in Loop: Header=BB4_159 Depth=2
	s_or_b64 exec, exec, s[56:57]
	s_waitcnt vmcnt(0)
	v_readfirstlane_b32 s42, v35
	v_add_u32_e32 v35, s42, v4
	v_cmp_lt_i32_e32 vcc, v35, v39
	s_mov_b64 s[58:59], 0
                                        ; implicit-def: $vgpr4
                                        ; implicit-def: $vgpr46
	s_and_saveexec_b64 s[56:57], vcc
	s_xor_b64 s[56:57], exec, s[56:57]
	s_cbranch_execz .LBB4_265
; %bb.252:                              ;   in Loop: Header=BB4_159 Depth=2
	s_andn2_b64 vcc, exec, s[26:27]
	v_xad_u32 v46, v35, -1, s69
	s_cbranch_vccnz .LBB4_262
; %bb.253:                              ;   in Loop: Header=BB4_159 Depth=2
	v_ashrrev_i32_e32 v45, 31, v44
	v_lshlrev_b64 v[60:61], 2, v[44:45]
	v_mov_b32_e32 v4, s23
	v_add_co_u32_e32 v60, vcc, s22, v60
	v_addc_co_u32_e32 v61, vcc, v4, v61, vcc
	global_load_dword v4, v[60:61], off
	s_andn2_b64 vcc, exec, s[58:59]
	s_cbranch_vccz .LBB4_263
	s_branch .LBB4_264
.LBB4_254:                              ;   in Loop: Header=BB4_159 Depth=2
	s_andn2_saveexec_b64 s[52:53], s[52:53]
	s_cbranch_execz .LBB4_267
.LBB4_255:                              ;   in Loop: Header=BB4_159 Depth=2
	s_mov_b64 s[58:59], exec
	s_waitcnt vmcnt(0)
	v_mbcnt_lo_u32_b32 v4, s58, 0
	v_mbcnt_hi_u32_b32 v4, s59, v4
	v_cmp_eq_u32_e32 vcc, 0, v4
                                        ; implicit-def: $vgpr35
	s_and_saveexec_b64 s[56:57], vcc
	s_cbranch_execz .LBB4_257
; %bb.256:                              ;   in Loop: Header=BB4_159 Depth=2
	s_bcnt1_i32_b64 s42, s[58:59]
	v_mov_b32_e32 v35, s42
	global_atomic_add v35, v29, v35, s[24:25] offset:384 glc
.LBB4_257:                              ;   in Loop: Header=BB4_159 Depth=2
	s_or_b64 exec, exec, s[56:57]
	s_waitcnt vmcnt(0)
	v_readfirstlane_b32 s42, v35
	s_andn2_b64 vcc, exec, s[26:27]
	v_add_u32_e32 v46, s42, v4
	s_cbranch_vccnz .LBB4_259
; %bb.258:                              ;   in Loop: Header=BB4_159 Depth=2
	v_ashrrev_i32_e32 v45, 31, v44
	v_lshlrev_b64 v[60:61], 2, v[44:45]
	v_mov_b32_e32 v4, s23
	v_add_co_u32_e32 v60, vcc, s22, v60
	v_addc_co_u32_e32 v61, vcc, v4, v61, vcc
	global_load_dword v4, v[60:61], off
	s_cbranch_execz .LBB4_260
	s_branch .LBB4_261
.LBB4_259:                              ;   in Loop: Header=BB4_159 Depth=2
                                        ; implicit-def: $vgpr4
.LBB4_260:                              ;   in Loop: Header=BB4_159 Depth=2
	s_waitcnt vmcnt(0)
	v_add_u32_e32 v4, s20, v44
.LBB4_261:                              ;   in Loop: Header=BB4_159 Depth=2
	s_or_b64 s[54:55], s[54:55], exec
	s_or_b64 exec, exec, s[52:53]
	s_and_saveexec_b64 s[52:53], s[54:55]
	s_cbranch_execnz .LBB4_268
	s_branch .LBB4_269
.LBB4_262:                              ;   in Loop: Header=BB4_159 Depth=2
                                        ; implicit-def: $vgpr4
.LBB4_263:                              ;   in Loop: Header=BB4_159 Depth=2
	s_waitcnt vmcnt(0)
	v_add_u32_e32 v4, s20, v44
.LBB4_264:                              ;   in Loop: Header=BB4_159 Depth=2
	s_mov_b64 s[58:59], exec
.LBB4_265:                              ;   in Loop: Header=BB4_159 Depth=2
	s_or_b64 exec, exec, s[56:57]
	s_and_b64 s[56:57], s[58:59], exec
.LBB4_266:                              ;   in Loop: Header=BB4_159 Depth=2
	s_or_b64 exec, exec, s[54:55]
	s_and_b64 s[54:55], s[56:57], exec
	s_andn2_saveexec_b64 s[52:53], s[52:53]
	s_cbranch_execnz .LBB4_255
.LBB4_267:                              ;   in Loop: Header=BB4_159 Depth=2
	s_or_b64 exec, exec, s[52:53]
	s_and_saveexec_b64 s[52:53], s[54:55]
	s_cbranch_execz .LBB4_269
.LBB4_268:                              ;   in Loop: Header=BB4_159 Depth=2
	v_ashrrev_i32_e32 v47, 31, v46
	v_lshlrev_b64 v[46:47], 2, v[46:47]
	v_mov_b32_e32 v35, s33
	v_add_co_u32_e32 v46, vcc, s21, v46
	v_addc_co_u32_e32 v47, vcc, v35, v47, vcc
	s_waitcnt vmcnt(0)
	global_store_dword v[46:47], v4, off
.LBB4_269:                              ;   in Loop: Header=BB4_159 Depth=2
	s_or_b64 exec, exec, s[52:53]
	v_cmp_gt_i32_e32 vcc, 0, v5
	s_waitcnt vmcnt(0)
	v_cndmask_b32_e64 v4, v57, 0, vcc
	v_xor_b32_e32 v5, v4, v5
	v_add_u32_e32 v35, 1, v44
	v_cmp_ge_u32_e32 vcc, v5, v38
	s_mov_b64 s[54:55], 0
                                        ; implicit-def: $vgpr41
                                        ; implicit-def: $vgpr4
	s_and_saveexec_b64 s[52:53], vcc
	s_xor_b64 s[52:53], exec, s[52:53]
	s_cbranch_execz .LBB4_276
; %bb.270:                              ;   in Loop: Header=BB4_159 Depth=2
	v_cmp_eq_u32_e32 vcc, v5, v38
	s_mov_b64 s[56:57], 0
                                        ; implicit-def: $vgpr41
                                        ; implicit-def: $vgpr4
	s_and_saveexec_b64 s[54:55], vcc
	s_cbranch_execz .LBB4_288
; %bb.271:                              ;   in Loop: Header=BB4_159 Depth=2
	s_mov_b64 s[58:59], exec
	v_mbcnt_lo_u32_b32 v4, s58, 0
	v_mbcnt_hi_u32_b32 v4, s59, v4
	v_cmp_eq_u32_e32 vcc, 0, v4
                                        ; implicit-def: $vgpr5
	s_and_saveexec_b64 s[56:57], vcc
	s_cbranch_execz .LBB4_273
; %bb.272:                              ;   in Loop: Header=BB4_159 Depth=2
	s_bcnt1_i32_b64 s42, s[58:59]
	v_mov_b32_e32 v5, s42
	global_atomic_add v5, v29, v5, s[24:25] offset:512 glc
.LBB4_273:                              ;   in Loop: Header=BB4_159 Depth=2
	s_or_b64 exec, exec, s[56:57]
	s_waitcnt vmcnt(0)
	v_readfirstlane_b32 s42, v5
	v_add_u32_e32 v5, s42, v4
	v_cmp_lt_i32_e32 vcc, v5, v39
	s_mov_b64 s[58:59], 0
                                        ; implicit-def: $vgpr41
                                        ; implicit-def: $vgpr4
	s_and_saveexec_b64 s[56:57], vcc
	s_cbranch_execz .LBB4_287
; %bb.274:                              ;   in Loop: Header=BB4_159 Depth=2
	s_andn2_b64 vcc, exec, s[26:27]
	v_xad_u32 v4, v5, -1, s69
	s_cbranch_vccnz .LBB4_284
; %bb.275:                              ;   in Loop: Header=BB4_159 Depth=2
	v_ashrrev_i32_e32 v45, 31, v44
	v_lshlrev_b64 v[46:47], 2, v[44:45]
	v_mov_b32_e32 v5, s35
	v_add_co_u32_e32 v46, vcc, s29, v46
	v_addc_co_u32_e32 v47, vcc, v5, v47, vcc
	global_load_dword v41, v[46:47], off
	s_andn2_b64 vcc, exec, s[58:59]
	s_cbranch_vccz .LBB4_285
	s_branch .LBB4_286
.LBB4_276:                              ;   in Loop: Header=BB4_159 Depth=2
	s_andn2_saveexec_b64 s[52:53], s[52:53]
	s_cbranch_execz .LBB4_289
.LBB4_277:                              ;   in Loop: Header=BB4_159 Depth=2
	s_mov_b64 s[58:59], exec
	v_mbcnt_lo_u32_b32 v4, s58, 0
	v_mbcnt_hi_u32_b32 v4, s59, v4
	v_cmp_eq_u32_e32 vcc, 0, v4
                                        ; implicit-def: $vgpr5
	s_and_saveexec_b64 s[56:57], vcc
	s_cbranch_execz .LBB4_279
; %bb.278:                              ;   in Loop: Header=BB4_159 Depth=2
	s_bcnt1_i32_b64 s42, s[58:59]
	v_mov_b32_e32 v5, s42
	global_atomic_add v5, v29, v5, s[24:25] offset:384 glc
.LBB4_279:                              ;   in Loop: Header=BB4_159 Depth=2
	s_or_b64 exec, exec, s[56:57]
	s_waitcnt vmcnt(0)
	v_readfirstlane_b32 s42, v5
	s_andn2_b64 vcc, exec, s[26:27]
	v_add_u32_e32 v4, s42, v4
	s_cbranch_vccnz .LBB4_281
; %bb.280:                              ;   in Loop: Header=BB4_159 Depth=2
	v_ashrrev_i32_e32 v45, 31, v44
	v_lshlrev_b64 v[46:47], 2, v[44:45]
	v_mov_b32_e32 v5, s35
	v_add_co_u32_e32 v46, vcc, s29, v46
	v_addc_co_u32_e32 v47, vcc, v5, v47, vcc
	global_load_dword v41, v[46:47], off
	s_cbranch_execz .LBB4_282
	s_branch .LBB4_283
.LBB4_281:                              ;   in Loop: Header=BB4_159 Depth=2
                                        ; implicit-def: $vgpr41
.LBB4_282:                              ;   in Loop: Header=BB4_159 Depth=2
	s_waitcnt vmcnt(0)
	v_add_u32_e32 v41, s20, v35
.LBB4_283:                              ;   in Loop: Header=BB4_159 Depth=2
	s_or_b64 s[54:55], s[54:55], exec
	s_or_b64 exec, exec, s[52:53]
	s_and_saveexec_b64 s[52:53], s[54:55]
	s_cbranch_execnz .LBB4_290
	s_branch .LBB4_291
.LBB4_284:                              ;   in Loop: Header=BB4_159 Depth=2
                                        ; implicit-def: $vgpr41
.LBB4_285:                              ;   in Loop: Header=BB4_159 Depth=2
	s_waitcnt vmcnt(0)
	v_add_u32_e32 v41, s20, v35
.LBB4_286:                              ;   in Loop: Header=BB4_159 Depth=2
	s_mov_b64 s[58:59], exec
.LBB4_287:                              ;   in Loop: Header=BB4_159 Depth=2
	s_or_b64 exec, exec, s[56:57]
	s_and_b64 s[56:57], s[58:59], exec
.LBB4_288:                              ;   in Loop: Header=BB4_159 Depth=2
	s_or_b64 exec, exec, s[54:55]
	s_and_b64 s[54:55], s[56:57], exec
                                        ; implicit-def: $vgpr35
	s_andn2_saveexec_b64 s[52:53], s[52:53]
	s_cbranch_execnz .LBB4_277
.LBB4_289:                              ;   in Loop: Header=BB4_159 Depth=2
	s_or_b64 exec, exec, s[52:53]
	s_and_saveexec_b64 s[52:53], s[54:55]
	s_cbranch_execz .LBB4_291
.LBB4_290:                              ;   in Loop: Header=BB4_159 Depth=2
	v_ashrrev_i32_e32 v5, 31, v4
	v_lshlrev_b64 v[4:5], 2, v[4:5]
	v_mov_b32_e32 v35, s33
	v_add_co_u32_e32 v4, vcc, s21, v4
	v_addc_co_u32_e32 v5, vcc, v35, v5, vcc
	s_waitcnt vmcnt(0)
	global_store_dword v[4:5], v41, off
.LBB4_291:                              ;   in Loop: Header=BB4_159 Depth=2
	s_or_b64 exec, exec, s[52:53]
	v_cmp_gt_i32_e32 vcc, 0, v6
	v_cndmask_b32_e64 v4, v57, 0, vcc
	v_xor_b32_e32 v35, v4, v6
	v_add_u32_e32 v5, 2, v44
	v_cmp_ge_u32_e32 vcc, v35, v38
	s_mov_b64 s[54:55], 0
                                        ; implicit-def: $vgpr6
                                        ; implicit-def: $vgpr4
	s_and_saveexec_b64 s[52:53], vcc
	s_xor_b64 s[52:53], exec, s[52:53]
	s_cbranch_execz .LBB4_298
; %bb.292:                              ;   in Loop: Header=BB4_159 Depth=2
	v_cmp_eq_u32_e32 vcc, v35, v38
	s_mov_b64 s[56:57], 0
                                        ; implicit-def: $vgpr6
                                        ; implicit-def: $vgpr4
	s_and_saveexec_b64 s[54:55], vcc
	s_cbranch_execz .LBB4_310
; %bb.293:                              ;   in Loop: Header=BB4_159 Depth=2
	s_mov_b64 s[58:59], exec
	v_mbcnt_lo_u32_b32 v4, s58, 0
	v_mbcnt_hi_u32_b32 v4, s59, v4
	v_cmp_eq_u32_e32 vcc, 0, v4
                                        ; implicit-def: $vgpr6
	s_and_saveexec_b64 s[56:57], vcc
	s_cbranch_execz .LBB4_295
; %bb.294:                              ;   in Loop: Header=BB4_159 Depth=2
	s_bcnt1_i32_b64 s42, s[58:59]
	v_mov_b32_e32 v6, s42
	global_atomic_add v6, v29, v6, s[24:25] offset:512 glc
.LBB4_295:                              ;   in Loop: Header=BB4_159 Depth=2
	s_or_b64 exec, exec, s[56:57]
	s_waitcnt vmcnt(0)
	v_readfirstlane_b32 s42, v6
	v_add_u32_e32 v35, s42, v4
	v_cmp_lt_i32_e32 vcc, v35, v39
	s_mov_b64 s[58:59], 0
                                        ; implicit-def: $vgpr6
                                        ; implicit-def: $vgpr4
	s_and_saveexec_b64 s[56:57], vcc
	s_cbranch_execz .LBB4_309
; %bb.296:                              ;   in Loop: Header=BB4_159 Depth=2
	s_andn2_b64 vcc, exec, s[26:27]
	v_xad_u32 v4, v35, -1, s69
	s_cbranch_vccnz .LBB4_306
; %bb.297:                              ;   in Loop: Header=BB4_159 Depth=2
	v_ashrrev_i32_e32 v45, 31, v44
	v_lshlrev_b64 v[46:47], 2, v[44:45]
	v_mov_b32_e32 v6, s63
	v_add_co_u32_e32 v46, vcc, s62, v46
	v_addc_co_u32_e32 v47, vcc, v6, v47, vcc
	global_load_dword v6, v[46:47], off
	s_andn2_b64 vcc, exec, s[58:59]
	s_cbranch_vccz .LBB4_307
	s_branch .LBB4_308
.LBB4_298:                              ;   in Loop: Header=BB4_159 Depth=2
	s_andn2_saveexec_b64 s[52:53], s[52:53]
	s_cbranch_execz .LBB4_311
.LBB4_299:                              ;   in Loop: Header=BB4_159 Depth=2
	s_mov_b64 s[58:59], exec
	v_mbcnt_lo_u32_b32 v4, s58, 0
	v_mbcnt_hi_u32_b32 v4, s59, v4
	v_cmp_eq_u32_e32 vcc, 0, v4
                                        ; implicit-def: $vgpr6
	s_and_saveexec_b64 s[56:57], vcc
	s_cbranch_execz .LBB4_301
; %bb.300:                              ;   in Loop: Header=BB4_159 Depth=2
	s_bcnt1_i32_b64 s42, s[58:59]
	s_waitcnt vmcnt(0)
	v_mov_b32_e32 v6, s42
	global_atomic_add v6, v29, v6, s[24:25] offset:384 glc
.LBB4_301:                              ;   in Loop: Header=BB4_159 Depth=2
	s_or_b64 exec, exec, s[56:57]
	s_waitcnt vmcnt(0)
	v_readfirstlane_b32 s42, v6
	s_andn2_b64 vcc, exec, s[26:27]
	v_add_u32_e32 v4, s42, v4
	s_cbranch_vccnz .LBB4_303
; %bb.302:                              ;   in Loop: Header=BB4_159 Depth=2
	v_ashrrev_i32_e32 v45, 31, v44
	v_lshlrev_b64 v[46:47], 2, v[44:45]
	v_mov_b32_e32 v6, s63
	v_add_co_u32_e32 v46, vcc, s62, v46
	v_addc_co_u32_e32 v47, vcc, v6, v47, vcc
	global_load_dword v6, v[46:47], off
	s_cbranch_execz .LBB4_304
	s_branch .LBB4_305
.LBB4_303:                              ;   in Loop: Header=BB4_159 Depth=2
                                        ; implicit-def: $vgpr6
.LBB4_304:                              ;   in Loop: Header=BB4_159 Depth=2
	s_waitcnt vmcnt(0)
	v_add_u32_e32 v6, s20, v5
.LBB4_305:                              ;   in Loop: Header=BB4_159 Depth=2
	s_or_b64 s[54:55], s[54:55], exec
	s_or_b64 exec, exec, s[52:53]
	s_and_saveexec_b64 s[52:53], s[54:55]
	s_cbranch_execnz .LBB4_312
	s_branch .LBB4_313
.LBB4_306:                              ;   in Loop: Header=BB4_159 Depth=2
                                        ; implicit-def: $vgpr6
.LBB4_307:                              ;   in Loop: Header=BB4_159 Depth=2
	s_waitcnt vmcnt(0)
	v_add_u32_e32 v6, s20, v5
.LBB4_308:                              ;   in Loop: Header=BB4_159 Depth=2
	s_mov_b64 s[58:59], exec
.LBB4_309:                              ;   in Loop: Header=BB4_159 Depth=2
	s_or_b64 exec, exec, s[56:57]
	s_and_b64 s[56:57], s[58:59], exec
.LBB4_310:                              ;   in Loop: Header=BB4_159 Depth=2
	s_or_b64 exec, exec, s[54:55]
	s_and_b64 s[54:55], s[56:57], exec
                                        ; implicit-def: $vgpr5
	s_andn2_saveexec_b64 s[52:53], s[52:53]
	s_cbranch_execnz .LBB4_299
.LBB4_311:                              ;   in Loop: Header=BB4_159 Depth=2
	s_or_b64 exec, exec, s[52:53]
	s_and_saveexec_b64 s[52:53], s[54:55]
	s_cbranch_execz .LBB4_313
.LBB4_312:                              ;   in Loop: Header=BB4_159 Depth=2
	v_ashrrev_i32_e32 v5, 31, v4
	v_lshlrev_b64 v[4:5], 2, v[4:5]
	v_mov_b32_e32 v35, s33
	v_add_co_u32_e32 v4, vcc, s21, v4
	v_addc_co_u32_e32 v5, vcc, v35, v5, vcc
	s_waitcnt vmcnt(0)
	global_store_dword v[4:5], v6, off
.LBB4_313:                              ;   in Loop: Header=BB4_159 Depth=2
	s_or_b64 exec, exec, s[52:53]
	v_cmp_gt_i32_e32 vcc, 0, v7
	v_cndmask_b32_e64 v4, v57, 0, vcc
	v_xor_b32_e32 v7, v4, v7
	v_add_u32_e32 v5, 3, v44
	v_cmp_ge_u32_e32 vcc, v7, v38
	s_mov_b64 s[54:55], 0
                                        ; implicit-def: $vgpr6
                                        ; implicit-def: $vgpr4
	s_and_saveexec_b64 s[52:53], vcc
	s_xor_b64 s[52:53], exec, s[52:53]
	s_cbranch_execz .LBB4_320
; %bb.314:                              ;   in Loop: Header=BB4_159 Depth=2
	v_cmp_eq_u32_e32 vcc, v7, v38
	s_mov_b64 s[56:57], 0
                                        ; implicit-def: $vgpr6
                                        ; implicit-def: $vgpr4
	s_and_saveexec_b64 s[54:55], vcc
	s_cbranch_execz .LBB4_332
; %bb.315:                              ;   in Loop: Header=BB4_159 Depth=2
	s_mov_b64 s[58:59], exec
	v_mbcnt_lo_u32_b32 v4, s58, 0
	v_mbcnt_hi_u32_b32 v4, s59, v4
	v_cmp_eq_u32_e32 vcc, 0, v4
                                        ; implicit-def: $vgpr6
	s_and_saveexec_b64 s[56:57], vcc
	s_cbranch_execz .LBB4_317
; %bb.316:                              ;   in Loop: Header=BB4_159 Depth=2
	s_bcnt1_i32_b64 s42, s[58:59]
	s_waitcnt vmcnt(0)
	v_mov_b32_e32 v6, s42
	global_atomic_add v6, v29, v6, s[24:25] offset:512 glc
.LBB4_317:                              ;   in Loop: Header=BB4_159 Depth=2
	s_or_b64 exec, exec, s[56:57]
	s_waitcnt vmcnt(0)
	v_readfirstlane_b32 s42, v6
	v_add_u32_e32 v7, s42, v4
	v_cmp_lt_i32_e32 vcc, v7, v39
	s_mov_b64 s[58:59], 0
                                        ; implicit-def: $vgpr6
                                        ; implicit-def: $vgpr4
	s_and_saveexec_b64 s[56:57], vcc
	s_cbranch_execz .LBB4_331
; %bb.318:                              ;   in Loop: Header=BB4_159 Depth=2
	s_andn2_b64 vcc, exec, s[26:27]
	v_xad_u32 v4, v7, -1, s69
	s_cbranch_vccnz .LBB4_328
; %bb.319:                              ;   in Loop: Header=BB4_159 Depth=2
	v_ashrrev_i32_e32 v45, 31, v44
	v_lshlrev_b64 v[6:7], 2, v[44:45]
	v_mov_b32_e32 v35, s65
	v_add_co_u32_e32 v6, vcc, s64, v6
	v_addc_co_u32_e32 v7, vcc, v35, v7, vcc
	global_load_dword v6, v[6:7], off
	s_andn2_b64 vcc, exec, s[58:59]
	s_cbranch_vccz .LBB4_329
	s_branch .LBB4_330
.LBB4_320:                              ;   in Loop: Header=BB4_159 Depth=2
	s_andn2_saveexec_b64 s[52:53], s[52:53]
	s_cbranch_execz .LBB4_333
.LBB4_321:                              ;   in Loop: Header=BB4_159 Depth=2
	s_mov_b64 s[58:59], exec
	v_mbcnt_lo_u32_b32 v4, s58, 0
	v_mbcnt_hi_u32_b32 v4, s59, v4
	v_cmp_eq_u32_e32 vcc, 0, v4
                                        ; implicit-def: $vgpr6
	s_and_saveexec_b64 s[56:57], vcc
	s_cbranch_execz .LBB4_323
; %bb.322:                              ;   in Loop: Header=BB4_159 Depth=2
	s_bcnt1_i32_b64 s42, s[58:59]
	s_waitcnt vmcnt(0)
	v_mov_b32_e32 v6, s42
	global_atomic_add v6, v29, v6, s[24:25] offset:384 glc
.LBB4_323:                              ;   in Loop: Header=BB4_159 Depth=2
	s_or_b64 exec, exec, s[56:57]
	s_waitcnt vmcnt(0)
	v_readfirstlane_b32 s42, v6
	s_andn2_b64 vcc, exec, s[26:27]
	v_add_u32_e32 v4, s42, v4
	s_cbranch_vccnz .LBB4_325
; %bb.324:                              ;   in Loop: Header=BB4_159 Depth=2
	v_ashrrev_i32_e32 v45, 31, v44
	v_lshlrev_b64 v[6:7], 2, v[44:45]
	v_mov_b32_e32 v35, s65
	v_add_co_u32_e32 v6, vcc, s64, v6
	v_addc_co_u32_e32 v7, vcc, v35, v7, vcc
	global_load_dword v6, v[6:7], off
	s_cbranch_execz .LBB4_326
	s_branch .LBB4_327
.LBB4_325:                              ;   in Loop: Header=BB4_159 Depth=2
                                        ; implicit-def: $vgpr6
.LBB4_326:                              ;   in Loop: Header=BB4_159 Depth=2
	s_waitcnt vmcnt(0)
	v_add_u32_e32 v6, s20, v5
.LBB4_327:                              ;   in Loop: Header=BB4_159 Depth=2
	s_or_b64 s[54:55], s[54:55], exec
	s_or_b64 exec, exec, s[52:53]
	s_and_saveexec_b64 s[52:53], s[54:55]
	s_cbranch_execnz .LBB4_334
	s_branch .LBB4_335
.LBB4_328:                              ;   in Loop: Header=BB4_159 Depth=2
                                        ; implicit-def: $vgpr6
.LBB4_329:                              ;   in Loop: Header=BB4_159 Depth=2
	s_waitcnt vmcnt(0)
	v_add_u32_e32 v6, s20, v5
.LBB4_330:                              ;   in Loop: Header=BB4_159 Depth=2
	s_mov_b64 s[58:59], exec
.LBB4_331:                              ;   in Loop: Header=BB4_159 Depth=2
	s_or_b64 exec, exec, s[56:57]
	s_and_b64 s[56:57], s[58:59], exec
.LBB4_332:                              ;   in Loop: Header=BB4_159 Depth=2
	s_or_b64 exec, exec, s[54:55]
	s_and_b64 s[54:55], s[56:57], exec
                                        ; implicit-def: $vgpr5
                                        ; implicit-def: $vgpr44
	s_andn2_saveexec_b64 s[52:53], s[52:53]
	s_cbranch_execnz .LBB4_321
.LBB4_333:                              ;   in Loop: Header=BB4_159 Depth=2
	s_or_b64 exec, exec, s[52:53]
	s_and_saveexec_b64 s[52:53], s[54:55]
	s_cbranch_execz .LBB4_335
.LBB4_334:                              ;   in Loop: Header=BB4_159 Depth=2
	v_ashrrev_i32_e32 v5, 31, v4
	v_lshlrev_b64 v[4:5], 2, v[4:5]
	v_mov_b32_e32 v7, s33
	v_add_co_u32_e32 v4, vcc, s21, v4
	v_addc_co_u32_e32 v5, vcc, v7, v5, vcc
	s_waitcnt vmcnt(0)
	global_store_dword v[4:5], v6, off
.LBB4_335:                              ;   in Loop: Header=BB4_159 Depth=2
	s_or_b64 exec, exec, s[52:53]
	v_cmp_gt_i32_e32 vcc, 0, v8
	v_cndmask_b32_e64 v5, v57, 0, vcc
	v_add_u32_e32 v4, s28, v28
	v_xor_b32_e32 v7, v5, v8
	v_lshl_add_u32 v4, v4, 2, s34
	v_cmp_ge_u32_e32 vcc, v7, v38
	s_mov_b64 s[54:55], 0
                                        ; implicit-def: $vgpr5
                                        ; implicit-def: $vgpr6
	s_and_saveexec_b64 s[52:53], vcc
	s_xor_b64 s[52:53], exec, s[52:53]
	s_cbranch_execz .LBB4_342
; %bb.336:                              ;   in Loop: Header=BB4_159 Depth=2
	v_cmp_eq_u32_e32 vcc, v7, v38
	s_mov_b64 s[56:57], 0
                                        ; implicit-def: $vgpr5
                                        ; implicit-def: $vgpr6
	s_and_saveexec_b64 s[54:55], vcc
	s_cbranch_execz .LBB4_354
; %bb.337:                              ;   in Loop: Header=BB4_159 Depth=2
	s_mov_b64 s[58:59], exec
	v_mbcnt_lo_u32_b32 v5, s58, 0
	v_mbcnt_hi_u32_b32 v5, s59, v5
	v_cmp_eq_u32_e32 vcc, 0, v5
                                        ; implicit-def: $vgpr6
	s_and_saveexec_b64 s[56:57], vcc
	s_cbranch_execz .LBB4_339
; %bb.338:                              ;   in Loop: Header=BB4_159 Depth=2
	s_bcnt1_i32_b64 s42, s[58:59]
	s_waitcnt vmcnt(0)
	v_mov_b32_e32 v6, s42
	global_atomic_add v6, v29, v6, s[24:25] offset:512 glc
.LBB4_339:                              ;   in Loop: Header=BB4_159 Depth=2
	s_or_b64 exec, exec, s[56:57]
	s_waitcnt vmcnt(0)
	v_readfirstlane_b32 s42, v6
	v_add_u32_e32 v7, s42, v5
	v_cmp_lt_i32_e32 vcc, v7, v39
	s_mov_b64 s[58:59], 0
                                        ; implicit-def: $vgpr5
                                        ; implicit-def: $vgpr6
	s_and_saveexec_b64 s[56:57], vcc
	s_xor_b64 s[56:57], exec, s[56:57]
	s_cbranch_execz .LBB4_353
; %bb.340:                              ;   in Loop: Header=BB4_159 Depth=2
	s_andn2_b64 vcc, exec, s[26:27]
	v_xad_u32 v6, v7, -1, s69
	s_cbranch_vccnz .LBB4_350
; %bb.341:                              ;   in Loop: Header=BB4_159 Depth=2
	v_ashrrev_i32_e32 v5, 31, v4
	v_lshlrev_b64 v[44:45], 2, v[4:5]
	v_mov_b32_e32 v5, s23
	v_add_co_u32_e32 v44, vcc, s22, v44
	v_addc_co_u32_e32 v45, vcc, v5, v45, vcc
	global_load_dword v5, v[44:45], off
	s_andn2_b64 vcc, exec, s[58:59]
	s_cbranch_vccz .LBB4_351
	s_branch .LBB4_352
.LBB4_342:                              ;   in Loop: Header=BB4_159 Depth=2
	s_andn2_saveexec_b64 s[52:53], s[52:53]
	s_cbranch_execz .LBB4_355
.LBB4_343:                              ;   in Loop: Header=BB4_159 Depth=2
	s_mov_b64 s[58:59], exec
	s_waitcnt vmcnt(0)
	v_mbcnt_lo_u32_b32 v5, s58, 0
	v_mbcnt_hi_u32_b32 v5, s59, v5
	v_cmp_eq_u32_e32 vcc, 0, v5
                                        ; implicit-def: $vgpr6
	s_and_saveexec_b64 s[56:57], vcc
	s_cbranch_execz .LBB4_345
; %bb.344:                              ;   in Loop: Header=BB4_159 Depth=2
	s_bcnt1_i32_b64 s42, s[58:59]
	v_mov_b32_e32 v6, s42
	global_atomic_add v6, v29, v6, s[24:25] offset:384 glc
.LBB4_345:                              ;   in Loop: Header=BB4_159 Depth=2
	s_or_b64 exec, exec, s[56:57]
	s_waitcnt vmcnt(0)
	v_readfirstlane_b32 s42, v6
	s_andn2_b64 vcc, exec, s[26:27]
	v_add_u32_e32 v6, s42, v5
	s_cbranch_vccnz .LBB4_347
; %bb.346:                              ;   in Loop: Header=BB4_159 Depth=2
	v_ashrrev_i32_e32 v5, 31, v4
	v_lshlrev_b64 v[44:45], 2, v[4:5]
	v_mov_b32_e32 v5, s23
	v_add_co_u32_e32 v44, vcc, s22, v44
	v_addc_co_u32_e32 v45, vcc, v5, v45, vcc
	global_load_dword v5, v[44:45], off
	s_cbranch_execz .LBB4_348
	s_branch .LBB4_349
.LBB4_347:                              ;   in Loop: Header=BB4_159 Depth=2
                                        ; implicit-def: $vgpr5
.LBB4_348:                              ;   in Loop: Header=BB4_159 Depth=2
	s_waitcnt vmcnt(0)
	v_add_u32_e32 v5, s20, v4
.LBB4_349:                              ;   in Loop: Header=BB4_159 Depth=2
	s_or_b64 s[54:55], s[54:55], exec
	s_or_b64 exec, exec, s[52:53]
	s_and_saveexec_b64 s[52:53], s[54:55]
	s_cbranch_execnz .LBB4_356
	s_branch .LBB4_357
.LBB4_350:                              ;   in Loop: Header=BB4_159 Depth=2
                                        ; implicit-def: $vgpr5
.LBB4_351:                              ;   in Loop: Header=BB4_159 Depth=2
	s_waitcnt vmcnt(0)
	v_add_u32_e32 v5, s20, v4
.LBB4_352:                              ;   in Loop: Header=BB4_159 Depth=2
	s_mov_b64 s[58:59], exec
.LBB4_353:                              ;   in Loop: Header=BB4_159 Depth=2
	s_or_b64 exec, exec, s[56:57]
	s_and_b64 s[56:57], s[58:59], exec
.LBB4_354:                              ;   in Loop: Header=BB4_159 Depth=2
	s_or_b64 exec, exec, s[54:55]
	s_and_b64 s[54:55], s[56:57], exec
	s_andn2_saveexec_b64 s[52:53], s[52:53]
	s_cbranch_execnz .LBB4_343
.LBB4_355:                              ;   in Loop: Header=BB4_159 Depth=2
	s_or_b64 exec, exec, s[52:53]
	s_and_saveexec_b64 s[52:53], s[54:55]
	s_cbranch_execz .LBB4_357
.LBB4_356:                              ;   in Loop: Header=BB4_159 Depth=2
	s_waitcnt vmcnt(0)
	v_ashrrev_i32_e32 v7, 31, v6
	v_lshlrev_b64 v[6:7], 2, v[6:7]
	v_mov_b32_e32 v8, s33
	v_add_co_u32_e32 v6, vcc, s21, v6
	v_addc_co_u32_e32 v7, vcc, v8, v7, vcc
	global_store_dword v[6:7], v5, off
.LBB4_357:                              ;   in Loop: Header=BB4_159 Depth=2
	s_or_b64 exec, exec, s[52:53]
	v_cmp_gt_i32_e32 vcc, 0, v9
	s_waitcnt vmcnt(0)
	v_cndmask_b32_e64 v5, v57, 0, vcc
	v_xor_b32_e32 v8, v5, v9
	v_add_u32_e32 v7, 1, v4
	v_cmp_ge_u32_e32 vcc, v8, v38
	s_mov_b64 s[54:55], 0
                                        ; implicit-def: $vgpr5
                                        ; implicit-def: $vgpr6
	s_and_saveexec_b64 s[52:53], vcc
	s_xor_b64 s[52:53], exec, s[52:53]
	s_cbranch_execz .LBB4_364
; %bb.358:                              ;   in Loop: Header=BB4_159 Depth=2
	v_cmp_eq_u32_e32 vcc, v8, v38
	s_mov_b64 s[56:57], 0
                                        ; implicit-def: $vgpr5
                                        ; implicit-def: $vgpr6
	s_and_saveexec_b64 s[54:55], vcc
	s_cbranch_execz .LBB4_376
; %bb.359:                              ;   in Loop: Header=BB4_159 Depth=2
	s_mov_b64 s[58:59], exec
	v_mbcnt_lo_u32_b32 v5, s58, 0
	v_mbcnt_hi_u32_b32 v5, s59, v5
	v_cmp_eq_u32_e32 vcc, 0, v5
                                        ; implicit-def: $vgpr6
	s_and_saveexec_b64 s[56:57], vcc
	s_cbranch_execz .LBB4_361
; %bb.360:                              ;   in Loop: Header=BB4_159 Depth=2
	s_bcnt1_i32_b64 s42, s[58:59]
	v_mov_b32_e32 v6, s42
	global_atomic_add v6, v29, v6, s[24:25] offset:512 glc
.LBB4_361:                              ;   in Loop: Header=BB4_159 Depth=2
	s_or_b64 exec, exec, s[56:57]
	s_waitcnt vmcnt(0)
	v_readfirstlane_b32 s42, v6
	v_add_u32_e32 v8, s42, v5
	v_cmp_lt_i32_e32 vcc, v8, v39
	s_mov_b64 s[58:59], 0
                                        ; implicit-def: $vgpr5
                                        ; implicit-def: $vgpr6
	s_and_saveexec_b64 s[56:57], vcc
	s_cbranch_execz .LBB4_375
; %bb.362:                              ;   in Loop: Header=BB4_159 Depth=2
	s_andn2_b64 vcc, exec, s[26:27]
	v_xad_u32 v6, v8, -1, s69
	s_cbranch_vccnz .LBB4_372
; %bb.363:                              ;   in Loop: Header=BB4_159 Depth=2
	v_ashrrev_i32_e32 v5, 31, v4
	v_lshlrev_b64 v[8:9], 2, v[4:5]
	v_mov_b32_e32 v5, s35
	v_add_co_u32_e32 v8, vcc, s29, v8
	v_addc_co_u32_e32 v9, vcc, v5, v9, vcc
	global_load_dword v5, v[8:9], off
	s_andn2_b64 vcc, exec, s[58:59]
	s_cbranch_vccz .LBB4_373
	s_branch .LBB4_374
.LBB4_364:                              ;   in Loop: Header=BB4_159 Depth=2
	s_andn2_saveexec_b64 s[52:53], s[52:53]
	s_cbranch_execz .LBB4_377
.LBB4_365:                              ;   in Loop: Header=BB4_159 Depth=2
	s_mov_b64 s[58:59], exec
	s_waitcnt vmcnt(0)
	v_mbcnt_lo_u32_b32 v5, s58, 0
	v_mbcnt_hi_u32_b32 v5, s59, v5
	v_cmp_eq_u32_e32 vcc, 0, v5
                                        ; implicit-def: $vgpr6
	s_and_saveexec_b64 s[56:57], vcc
	s_cbranch_execz .LBB4_367
; %bb.366:                              ;   in Loop: Header=BB4_159 Depth=2
	s_bcnt1_i32_b64 s42, s[58:59]
	v_mov_b32_e32 v6, s42
	global_atomic_add v6, v29, v6, s[24:25] offset:384 glc
.LBB4_367:                              ;   in Loop: Header=BB4_159 Depth=2
	s_or_b64 exec, exec, s[56:57]
	s_waitcnt vmcnt(0)
	v_readfirstlane_b32 s42, v6
	s_andn2_b64 vcc, exec, s[26:27]
	v_add_u32_e32 v6, s42, v5
	s_cbranch_vccnz .LBB4_369
; %bb.368:                              ;   in Loop: Header=BB4_159 Depth=2
	v_ashrrev_i32_e32 v5, 31, v4
	v_lshlrev_b64 v[8:9], 2, v[4:5]
	v_mov_b32_e32 v5, s35
	v_add_co_u32_e32 v8, vcc, s29, v8
	v_addc_co_u32_e32 v9, vcc, v5, v9, vcc
	global_load_dword v5, v[8:9], off
	s_cbranch_execz .LBB4_370
	s_branch .LBB4_371
.LBB4_369:                              ;   in Loop: Header=BB4_159 Depth=2
                                        ; implicit-def: $vgpr5
.LBB4_370:                              ;   in Loop: Header=BB4_159 Depth=2
	s_waitcnt vmcnt(0)
	v_add_u32_e32 v5, s20, v7
.LBB4_371:                              ;   in Loop: Header=BB4_159 Depth=2
	s_or_b64 s[54:55], s[54:55], exec
	s_or_b64 exec, exec, s[52:53]
	s_and_saveexec_b64 s[52:53], s[54:55]
	s_cbranch_execnz .LBB4_378
	s_branch .LBB4_379
.LBB4_372:                              ;   in Loop: Header=BB4_159 Depth=2
                                        ; implicit-def: $vgpr5
.LBB4_373:                              ;   in Loop: Header=BB4_159 Depth=2
	s_waitcnt vmcnt(0)
	v_add_u32_e32 v5, s20, v7
.LBB4_374:                              ;   in Loop: Header=BB4_159 Depth=2
	s_mov_b64 s[58:59], exec
.LBB4_375:                              ;   in Loop: Header=BB4_159 Depth=2
	s_or_b64 exec, exec, s[56:57]
	s_and_b64 s[56:57], s[58:59], exec
.LBB4_376:                              ;   in Loop: Header=BB4_159 Depth=2
	s_or_b64 exec, exec, s[54:55]
	s_and_b64 s[54:55], s[56:57], exec
                                        ; implicit-def: $vgpr7
	s_andn2_saveexec_b64 s[52:53], s[52:53]
	s_cbranch_execnz .LBB4_365
.LBB4_377:                              ;   in Loop: Header=BB4_159 Depth=2
	s_or_b64 exec, exec, s[52:53]
	s_and_saveexec_b64 s[52:53], s[54:55]
	s_cbranch_execz .LBB4_379
.LBB4_378:                              ;   in Loop: Header=BB4_159 Depth=2
	v_ashrrev_i32_e32 v7, 31, v6
	v_lshlrev_b64 v[6:7], 2, v[6:7]
	v_mov_b32_e32 v8, s33
	v_add_co_u32_e32 v6, vcc, s21, v6
	v_addc_co_u32_e32 v7, vcc, v8, v7, vcc
	s_waitcnt vmcnt(0)
	global_store_dword v[6:7], v5, off
.LBB4_379:                              ;   in Loop: Header=BB4_159 Depth=2
	s_or_b64 exec, exec, s[52:53]
	v_cmp_gt_i32_e32 vcc, 0, v10
	s_waitcnt vmcnt(0)
	v_cndmask_b32_e64 v5, v57, 0, vcc
	v_xor_b32_e32 v8, v5, v10
	v_add_u32_e32 v7, 2, v4
	v_cmp_ge_u32_e32 vcc, v8, v38
	s_mov_b64 s[54:55], 0
                                        ; implicit-def: $vgpr5
                                        ; implicit-def: $vgpr6
	s_and_saveexec_b64 s[52:53], vcc
	s_xor_b64 s[52:53], exec, s[52:53]
	s_cbranch_execz .LBB4_386
; %bb.380:                              ;   in Loop: Header=BB4_159 Depth=2
	v_cmp_eq_u32_e32 vcc, v8, v38
	s_mov_b64 s[56:57], 0
                                        ; implicit-def: $vgpr5
                                        ; implicit-def: $vgpr6
	s_and_saveexec_b64 s[54:55], vcc
	s_cbranch_execz .LBB4_398
; %bb.381:                              ;   in Loop: Header=BB4_159 Depth=2
	s_mov_b64 s[58:59], exec
	v_mbcnt_lo_u32_b32 v5, s58, 0
	v_mbcnt_hi_u32_b32 v5, s59, v5
	v_cmp_eq_u32_e32 vcc, 0, v5
                                        ; implicit-def: $vgpr6
	s_and_saveexec_b64 s[56:57], vcc
	s_cbranch_execz .LBB4_383
; %bb.382:                              ;   in Loop: Header=BB4_159 Depth=2
	s_bcnt1_i32_b64 s42, s[58:59]
	v_mov_b32_e32 v6, s42
	global_atomic_add v6, v29, v6, s[24:25] offset:512 glc
.LBB4_383:                              ;   in Loop: Header=BB4_159 Depth=2
	s_or_b64 exec, exec, s[56:57]
	s_waitcnt vmcnt(0)
	v_readfirstlane_b32 s42, v6
	v_add_u32_e32 v8, s42, v5
	v_cmp_lt_i32_e32 vcc, v8, v39
	s_mov_b64 s[58:59], 0
                                        ; implicit-def: $vgpr5
                                        ; implicit-def: $vgpr6
	s_and_saveexec_b64 s[56:57], vcc
	s_cbranch_execz .LBB4_397
; %bb.384:                              ;   in Loop: Header=BB4_159 Depth=2
	s_andn2_b64 vcc, exec, s[26:27]
	v_xad_u32 v6, v8, -1, s69
	s_cbranch_vccnz .LBB4_394
; %bb.385:                              ;   in Loop: Header=BB4_159 Depth=2
	v_ashrrev_i32_e32 v5, 31, v4
	v_lshlrev_b64 v[8:9], 2, v[4:5]
	v_mov_b32_e32 v5, s63
	v_add_co_u32_e32 v8, vcc, s62, v8
	v_addc_co_u32_e32 v9, vcc, v5, v9, vcc
	global_load_dword v5, v[8:9], off
	s_andn2_b64 vcc, exec, s[58:59]
	s_cbranch_vccz .LBB4_395
	s_branch .LBB4_396
.LBB4_386:                              ;   in Loop: Header=BB4_159 Depth=2
	s_andn2_saveexec_b64 s[52:53], s[52:53]
	s_cbranch_execz .LBB4_399
.LBB4_387:                              ;   in Loop: Header=BB4_159 Depth=2
	s_mov_b64 s[58:59], exec
	s_waitcnt vmcnt(0)
	v_mbcnt_lo_u32_b32 v5, s58, 0
	v_mbcnt_hi_u32_b32 v5, s59, v5
	v_cmp_eq_u32_e32 vcc, 0, v5
                                        ; implicit-def: $vgpr6
	s_and_saveexec_b64 s[56:57], vcc
	s_cbranch_execz .LBB4_389
; %bb.388:                              ;   in Loop: Header=BB4_159 Depth=2
	s_bcnt1_i32_b64 s42, s[58:59]
	v_mov_b32_e32 v6, s42
	global_atomic_add v6, v29, v6, s[24:25] offset:384 glc
.LBB4_389:                              ;   in Loop: Header=BB4_159 Depth=2
	s_or_b64 exec, exec, s[56:57]
	s_waitcnt vmcnt(0)
	v_readfirstlane_b32 s42, v6
	s_andn2_b64 vcc, exec, s[26:27]
	v_add_u32_e32 v6, s42, v5
	s_cbranch_vccnz .LBB4_391
; %bb.390:                              ;   in Loop: Header=BB4_159 Depth=2
	v_ashrrev_i32_e32 v5, 31, v4
	v_lshlrev_b64 v[8:9], 2, v[4:5]
	v_mov_b32_e32 v5, s63
	v_add_co_u32_e32 v8, vcc, s62, v8
	v_addc_co_u32_e32 v9, vcc, v5, v9, vcc
	global_load_dword v5, v[8:9], off
	s_cbranch_execz .LBB4_392
	s_branch .LBB4_393
.LBB4_391:                              ;   in Loop: Header=BB4_159 Depth=2
                                        ; implicit-def: $vgpr5
.LBB4_392:                              ;   in Loop: Header=BB4_159 Depth=2
	s_waitcnt vmcnt(0)
	v_add_u32_e32 v5, s20, v7
.LBB4_393:                              ;   in Loop: Header=BB4_159 Depth=2
	s_or_b64 s[54:55], s[54:55], exec
	s_or_b64 exec, exec, s[52:53]
	s_and_saveexec_b64 s[52:53], s[54:55]
	s_cbranch_execnz .LBB4_400
	s_branch .LBB4_401
.LBB4_394:                              ;   in Loop: Header=BB4_159 Depth=2
                                        ; implicit-def: $vgpr5
.LBB4_395:                              ;   in Loop: Header=BB4_159 Depth=2
	s_waitcnt vmcnt(0)
	v_add_u32_e32 v5, s20, v7
.LBB4_396:                              ;   in Loop: Header=BB4_159 Depth=2
	s_mov_b64 s[58:59], exec
.LBB4_397:                              ;   in Loop: Header=BB4_159 Depth=2
	s_or_b64 exec, exec, s[56:57]
	s_and_b64 s[56:57], s[58:59], exec
.LBB4_398:                              ;   in Loop: Header=BB4_159 Depth=2
	s_or_b64 exec, exec, s[54:55]
	s_and_b64 s[54:55], s[56:57], exec
                                        ; implicit-def: $vgpr7
	s_andn2_saveexec_b64 s[52:53], s[52:53]
	s_cbranch_execnz .LBB4_387
.LBB4_399:                              ;   in Loop: Header=BB4_159 Depth=2
	s_or_b64 exec, exec, s[52:53]
	s_and_saveexec_b64 s[52:53], s[54:55]
	s_cbranch_execz .LBB4_401
.LBB4_400:                              ;   in Loop: Header=BB4_159 Depth=2
	v_ashrrev_i32_e32 v7, 31, v6
	v_lshlrev_b64 v[6:7], 2, v[6:7]
	v_mov_b32_e32 v8, s33
	v_add_co_u32_e32 v6, vcc, s21, v6
	v_addc_co_u32_e32 v7, vcc, v8, v7, vcc
	s_waitcnt vmcnt(0)
	global_store_dword v[6:7], v5, off
.LBB4_401:                              ;   in Loop: Header=BB4_159 Depth=2
	s_or_b64 exec, exec, s[52:53]
	v_cmp_gt_i32_e32 vcc, 0, v11
	s_waitcnt vmcnt(0)
	v_cndmask_b32_e64 v5, v57, 0, vcc
	v_xor_b32_e32 v8, v5, v11
	v_add_u32_e32 v7, 3, v4
	v_cmp_ge_u32_e32 vcc, v8, v38
	s_mov_b64 s[54:55], 0
                                        ; implicit-def: $vgpr5
                                        ; implicit-def: $vgpr6
	s_and_saveexec_b64 s[52:53], vcc
	s_xor_b64 s[52:53], exec, s[52:53]
	s_cbranch_execz .LBB4_408
; %bb.402:                              ;   in Loop: Header=BB4_159 Depth=2
	v_cmp_eq_u32_e32 vcc, v8, v38
	s_mov_b64 s[56:57], 0
                                        ; implicit-def: $vgpr5
                                        ; implicit-def: $vgpr6
	s_and_saveexec_b64 s[54:55], vcc
	s_cbranch_execz .LBB4_420
; %bb.403:                              ;   in Loop: Header=BB4_159 Depth=2
	s_mov_b64 s[58:59], exec
	v_mbcnt_lo_u32_b32 v5, s58, 0
	v_mbcnt_hi_u32_b32 v5, s59, v5
	v_cmp_eq_u32_e32 vcc, 0, v5
                                        ; implicit-def: $vgpr6
	s_and_saveexec_b64 s[56:57], vcc
	s_cbranch_execz .LBB4_405
; %bb.404:                              ;   in Loop: Header=BB4_159 Depth=2
	s_bcnt1_i32_b64 s42, s[58:59]
	v_mov_b32_e32 v6, s42
	global_atomic_add v6, v29, v6, s[24:25] offset:512 glc
.LBB4_405:                              ;   in Loop: Header=BB4_159 Depth=2
	s_or_b64 exec, exec, s[56:57]
	s_waitcnt vmcnt(0)
	v_readfirstlane_b32 s42, v6
	v_add_u32_e32 v8, s42, v5
	v_cmp_lt_i32_e32 vcc, v8, v39
	s_mov_b64 s[58:59], 0
                                        ; implicit-def: $vgpr5
                                        ; implicit-def: $vgpr6
	s_and_saveexec_b64 s[56:57], vcc
	s_cbranch_execz .LBB4_419
; %bb.406:                              ;   in Loop: Header=BB4_159 Depth=2
	s_andn2_b64 vcc, exec, s[26:27]
	v_xad_u32 v6, v8, -1, s69
	s_cbranch_vccnz .LBB4_416
; %bb.407:                              ;   in Loop: Header=BB4_159 Depth=2
	v_ashrrev_i32_e32 v5, 31, v4
	v_lshlrev_b64 v[4:5], 2, v[4:5]
	v_mov_b32_e32 v8, s65
	v_add_co_u32_e32 v4, vcc, s64, v4
	v_addc_co_u32_e32 v5, vcc, v8, v5, vcc
	global_load_dword v5, v[4:5], off
	s_andn2_b64 vcc, exec, s[58:59]
	s_cbranch_vccz .LBB4_417
	s_branch .LBB4_418
.LBB4_408:                              ;   in Loop: Header=BB4_159 Depth=2
	s_andn2_saveexec_b64 s[52:53], s[52:53]
	s_cbranch_execz .LBB4_421
.LBB4_409:                              ;   in Loop: Header=BB4_159 Depth=2
	s_mov_b64 s[58:59], exec
	s_waitcnt vmcnt(0)
	v_mbcnt_lo_u32_b32 v5, s58, 0
	v_mbcnt_hi_u32_b32 v5, s59, v5
	v_cmp_eq_u32_e32 vcc, 0, v5
                                        ; implicit-def: $vgpr6
	s_and_saveexec_b64 s[56:57], vcc
	s_cbranch_execz .LBB4_411
; %bb.410:                              ;   in Loop: Header=BB4_159 Depth=2
	s_bcnt1_i32_b64 s42, s[58:59]
	v_mov_b32_e32 v6, s42
	global_atomic_add v6, v29, v6, s[24:25] offset:384 glc
.LBB4_411:                              ;   in Loop: Header=BB4_159 Depth=2
	s_or_b64 exec, exec, s[56:57]
	s_waitcnt vmcnt(0)
	v_readfirstlane_b32 s42, v6
	s_andn2_b64 vcc, exec, s[26:27]
	v_add_u32_e32 v6, s42, v5
	s_cbranch_vccnz .LBB4_413
; %bb.412:                              ;   in Loop: Header=BB4_159 Depth=2
	v_ashrrev_i32_e32 v5, 31, v4
	v_lshlrev_b64 v[4:5], 2, v[4:5]
	v_mov_b32_e32 v8, s65
	v_add_co_u32_e32 v4, vcc, s64, v4
	v_addc_co_u32_e32 v5, vcc, v8, v5, vcc
	global_load_dword v5, v[4:5], off
	s_cbranch_execz .LBB4_414
	s_branch .LBB4_415
.LBB4_413:                              ;   in Loop: Header=BB4_159 Depth=2
                                        ; implicit-def: $vgpr5
.LBB4_414:                              ;   in Loop: Header=BB4_159 Depth=2
	s_waitcnt vmcnt(0)
	v_add_u32_e32 v5, s20, v7
.LBB4_415:                              ;   in Loop: Header=BB4_159 Depth=2
	s_or_b64 s[54:55], s[54:55], exec
	s_or_b64 exec, exec, s[52:53]
	s_and_saveexec_b64 s[52:53], s[54:55]
	s_cbranch_execnz .LBB4_422
	s_branch .LBB4_423
.LBB4_416:                              ;   in Loop: Header=BB4_159 Depth=2
                                        ; implicit-def: $vgpr5
.LBB4_417:                              ;   in Loop: Header=BB4_159 Depth=2
	s_waitcnt vmcnt(0)
	v_add_u32_e32 v5, s20, v7
.LBB4_418:                              ;   in Loop: Header=BB4_159 Depth=2
	s_mov_b64 s[58:59], exec
.LBB4_419:                              ;   in Loop: Header=BB4_159 Depth=2
	s_or_b64 exec, exec, s[56:57]
	s_and_b64 s[56:57], s[58:59], exec
.LBB4_420:                              ;   in Loop: Header=BB4_159 Depth=2
	s_or_b64 exec, exec, s[54:55]
	s_and_b64 s[54:55], s[56:57], exec
                                        ; implicit-def: $vgpr7
                                        ; implicit-def: $vgpr4
	s_andn2_saveexec_b64 s[52:53], s[52:53]
	s_cbranch_execnz .LBB4_409
.LBB4_421:                              ;   in Loop: Header=BB4_159 Depth=2
	s_or_b64 exec, exec, s[52:53]
	s_and_saveexec_b64 s[52:53], s[54:55]
	s_cbranch_execz .LBB4_423
.LBB4_422:                              ;   in Loop: Header=BB4_159 Depth=2
	v_ashrrev_i32_e32 v7, 31, v6
	v_lshlrev_b64 v[6:7], 2, v[6:7]
	v_mov_b32_e32 v4, s33
	v_add_co_u32_e32 v6, vcc, s21, v6
	v_addc_co_u32_e32 v7, vcc, v4, v7, vcc
	s_waitcnt vmcnt(0)
	global_store_dword v[6:7], v5, off
.LBB4_423:                              ;   in Loop: Header=BB4_159 Depth=2
	s_or_b64 exec, exec, s[52:53]
	v_cmp_gt_i32_e32 vcc, 0, v0
	s_waitcnt vmcnt(0)
	v_cndmask_b32_e64 v5, v57, 0, vcc
	v_xor_b32_e32 v5, v5, v0
	v_lshl_add_u32 v4, v42, 2, s34
	v_cmp_ge_u32_e32 vcc, v5, v38
	s_mov_b64 s[54:55], 0
                                        ; implicit-def: $vgpr0
                                        ; implicit-def: $vgpr6
	s_and_saveexec_b64 s[52:53], vcc
	s_xor_b64 s[52:53], exec, s[52:53]
	s_cbranch_execz .LBB4_430
; %bb.424:                              ;   in Loop: Header=BB4_159 Depth=2
	v_cmp_eq_u32_e32 vcc, v5, v38
	s_mov_b64 s[56:57], 0
                                        ; implicit-def: $vgpr0
                                        ; implicit-def: $vgpr6
	s_and_saveexec_b64 s[54:55], vcc
	s_cbranch_execz .LBB4_442
; %bb.425:                              ;   in Loop: Header=BB4_159 Depth=2
	s_mov_b64 s[58:59], exec
	v_mbcnt_lo_u32_b32 v0, s58, 0
	v_mbcnt_hi_u32_b32 v0, s59, v0
	v_cmp_eq_u32_e32 vcc, 0, v0
                                        ; implicit-def: $vgpr5
	s_and_saveexec_b64 s[56:57], vcc
	s_cbranch_execz .LBB4_427
; %bb.426:                              ;   in Loop: Header=BB4_159 Depth=2
	s_bcnt1_i32_b64 s42, s[58:59]
	v_mov_b32_e32 v5, s42
	global_atomic_add v5, v29, v5, s[24:25] offset:512 glc
.LBB4_427:                              ;   in Loop: Header=BB4_159 Depth=2
	s_or_b64 exec, exec, s[56:57]
	s_waitcnt vmcnt(0)
	v_readfirstlane_b32 s42, v5
	v_add_u32_e32 v5, s42, v0
	v_cmp_lt_i32_e32 vcc, v5, v39
	s_mov_b64 s[58:59], 0
                                        ; implicit-def: $vgpr0
                                        ; implicit-def: $vgpr6
	s_and_saveexec_b64 s[56:57], vcc
	s_xor_b64 s[56:57], exec, s[56:57]
	s_cbranch_execz .LBB4_441
; %bb.428:                              ;   in Loop: Header=BB4_159 Depth=2
	s_andn2_b64 vcc, exec, s[26:27]
	v_xad_u32 v6, v5, -1, s69
	s_cbranch_vccnz .LBB4_438
; %bb.429:                              ;   in Loop: Header=BB4_159 Depth=2
	v_ashrrev_i32_e32 v5, 31, v4
	v_lshlrev_b64 v[8:9], 2, v[4:5]
	v_mov_b32_e32 v0, s23
	v_add_co_u32_e32 v8, vcc, s22, v8
	v_addc_co_u32_e32 v9, vcc, v0, v9, vcc
	global_load_dword v0, v[8:9], off
	s_andn2_b64 vcc, exec, s[58:59]
	s_cbranch_vccz .LBB4_439
	s_branch .LBB4_440
.LBB4_430:                              ;   in Loop: Header=BB4_159 Depth=2
	s_andn2_saveexec_b64 s[52:53], s[52:53]
	s_cbranch_execz .LBB4_443
.LBB4_431:                              ;   in Loop: Header=BB4_159 Depth=2
	s_mov_b64 s[58:59], exec
	s_waitcnt vmcnt(0)
	v_mbcnt_lo_u32_b32 v0, s58, 0
	v_mbcnt_hi_u32_b32 v0, s59, v0
	v_cmp_eq_u32_e32 vcc, 0, v0
                                        ; implicit-def: $vgpr5
	s_and_saveexec_b64 s[56:57], vcc
	s_cbranch_execz .LBB4_433
; %bb.432:                              ;   in Loop: Header=BB4_159 Depth=2
	s_bcnt1_i32_b64 s42, s[58:59]
	v_mov_b32_e32 v5, s42
	global_atomic_add v5, v29, v5, s[24:25] offset:384 glc
.LBB4_433:                              ;   in Loop: Header=BB4_159 Depth=2
	s_or_b64 exec, exec, s[56:57]
	s_waitcnt vmcnt(0)
	v_readfirstlane_b32 s42, v5
	s_andn2_b64 vcc, exec, s[26:27]
	v_add_u32_e32 v6, s42, v0
	s_cbranch_vccnz .LBB4_435
; %bb.434:                              ;   in Loop: Header=BB4_159 Depth=2
	v_ashrrev_i32_e32 v5, 31, v4
	v_lshlrev_b64 v[8:9], 2, v[4:5]
	v_mov_b32_e32 v0, s23
	v_add_co_u32_e32 v8, vcc, s22, v8
	v_addc_co_u32_e32 v9, vcc, v0, v9, vcc
	global_load_dword v0, v[8:9], off
	s_cbranch_execz .LBB4_436
	s_branch .LBB4_437
.LBB4_435:                              ;   in Loop: Header=BB4_159 Depth=2
                                        ; implicit-def: $vgpr0
.LBB4_436:                              ;   in Loop: Header=BB4_159 Depth=2
	s_waitcnt vmcnt(0)
	v_add_u32_e32 v0, s20, v4
.LBB4_437:                              ;   in Loop: Header=BB4_159 Depth=2
	s_or_b64 s[54:55], s[54:55], exec
	s_or_b64 exec, exec, s[52:53]
	s_and_saveexec_b64 s[52:53], s[54:55]
	s_cbranch_execnz .LBB4_444
	s_branch .LBB4_445
.LBB4_438:                              ;   in Loop: Header=BB4_159 Depth=2
                                        ; implicit-def: $vgpr0
.LBB4_439:                              ;   in Loop: Header=BB4_159 Depth=2
	s_waitcnt vmcnt(0)
	v_add_u32_e32 v0, s20, v4
.LBB4_440:                              ;   in Loop: Header=BB4_159 Depth=2
	s_mov_b64 s[58:59], exec
.LBB4_441:                              ;   in Loop: Header=BB4_159 Depth=2
	s_or_b64 exec, exec, s[56:57]
	s_and_b64 s[56:57], s[58:59], exec
.LBB4_442:                              ;   in Loop: Header=BB4_159 Depth=2
	s_or_b64 exec, exec, s[54:55]
	s_and_b64 s[54:55], s[56:57], exec
	s_andn2_saveexec_b64 s[52:53], s[52:53]
	s_cbranch_execnz .LBB4_431
.LBB4_443:                              ;   in Loop: Header=BB4_159 Depth=2
	s_or_b64 exec, exec, s[52:53]
	s_and_saveexec_b64 s[52:53], s[54:55]
	s_cbranch_execz .LBB4_445
.LBB4_444:                              ;   in Loop: Header=BB4_159 Depth=2
	v_ashrrev_i32_e32 v7, 31, v6
	v_lshlrev_b64 v[6:7], 2, v[6:7]
	v_mov_b32_e32 v5, s33
	v_add_co_u32_e32 v6, vcc, s21, v6
	v_addc_co_u32_e32 v7, vcc, v5, v7, vcc
	s_waitcnt vmcnt(0)
	global_store_dword v[6:7], v0, off
.LBB4_445:                              ;   in Loop: Header=BB4_159 Depth=2
	s_or_b64 exec, exec, s[52:53]
	v_cmp_gt_i32_e32 vcc, 0, v1
	s_waitcnt vmcnt(0)
	v_cndmask_b32_e64 v0, v57, 0, vcc
	v_xor_b32_e32 v1, v0, v1
	v_add_u32_e32 v6, 1, v4
	v_cmp_ge_u32_e32 vcc, v1, v38
	s_mov_b64 s[54:55], 0
                                        ; implicit-def: $vgpr5
                                        ; implicit-def: $vgpr0
	s_and_saveexec_b64 s[52:53], vcc
	s_xor_b64 s[52:53], exec, s[52:53]
	s_cbranch_execz .LBB4_452
; %bb.446:                              ;   in Loop: Header=BB4_159 Depth=2
	v_cmp_eq_u32_e32 vcc, v1, v38
	s_mov_b64 s[56:57], 0
                                        ; implicit-def: $vgpr5
                                        ; implicit-def: $vgpr0
	s_and_saveexec_b64 s[54:55], vcc
	s_cbranch_execz .LBB4_464
; %bb.447:                              ;   in Loop: Header=BB4_159 Depth=2
	s_mov_b64 s[58:59], exec
	v_mbcnt_lo_u32_b32 v0, s58, 0
	v_mbcnt_hi_u32_b32 v0, s59, v0
	v_cmp_eq_u32_e32 vcc, 0, v0
                                        ; implicit-def: $vgpr1
	s_and_saveexec_b64 s[56:57], vcc
	s_cbranch_execz .LBB4_449
; %bb.448:                              ;   in Loop: Header=BB4_159 Depth=2
	s_bcnt1_i32_b64 s42, s[58:59]
	v_mov_b32_e32 v1, s42
	global_atomic_add v1, v29, v1, s[24:25] offset:512 glc
.LBB4_449:                              ;   in Loop: Header=BB4_159 Depth=2
	s_or_b64 exec, exec, s[56:57]
	s_waitcnt vmcnt(0)
	v_readfirstlane_b32 s42, v1
	v_add_u32_e32 v1, s42, v0
	v_cmp_lt_i32_e32 vcc, v1, v39
	s_mov_b64 s[58:59], 0
                                        ; implicit-def: $vgpr5
                                        ; implicit-def: $vgpr0
	s_and_saveexec_b64 s[56:57], vcc
	s_cbranch_execz .LBB4_463
; %bb.450:                              ;   in Loop: Header=BB4_159 Depth=2
	s_andn2_b64 vcc, exec, s[26:27]
	v_xad_u32 v0, v1, -1, s69
	s_cbranch_vccnz .LBB4_460
; %bb.451:                              ;   in Loop: Header=BB4_159 Depth=2
	v_ashrrev_i32_e32 v5, 31, v4
	v_lshlrev_b64 v[8:9], 2, v[4:5]
	v_mov_b32_e32 v1, s35
	v_add_co_u32_e32 v8, vcc, s29, v8
	v_addc_co_u32_e32 v9, vcc, v1, v9, vcc
	global_load_dword v5, v[8:9], off
	s_andn2_b64 vcc, exec, s[58:59]
	s_cbranch_vccz .LBB4_461
	s_branch .LBB4_462
.LBB4_452:                              ;   in Loop: Header=BB4_159 Depth=2
	s_andn2_saveexec_b64 s[52:53], s[52:53]
	s_cbranch_execz .LBB4_465
.LBB4_453:                              ;   in Loop: Header=BB4_159 Depth=2
	s_mov_b64 s[58:59], exec
	v_mbcnt_lo_u32_b32 v0, s58, 0
	v_mbcnt_hi_u32_b32 v0, s59, v0
	v_cmp_eq_u32_e32 vcc, 0, v0
                                        ; implicit-def: $vgpr1
	s_and_saveexec_b64 s[56:57], vcc
	s_cbranch_execz .LBB4_455
; %bb.454:                              ;   in Loop: Header=BB4_159 Depth=2
	s_bcnt1_i32_b64 s42, s[58:59]
	v_mov_b32_e32 v1, s42
	global_atomic_add v1, v29, v1, s[24:25] offset:384 glc
.LBB4_455:                              ;   in Loop: Header=BB4_159 Depth=2
	s_or_b64 exec, exec, s[56:57]
	s_waitcnt vmcnt(0)
	v_readfirstlane_b32 s42, v1
	s_andn2_b64 vcc, exec, s[26:27]
	v_add_u32_e32 v0, s42, v0
	s_cbranch_vccnz .LBB4_457
; %bb.456:                              ;   in Loop: Header=BB4_159 Depth=2
	v_ashrrev_i32_e32 v5, 31, v4
	v_lshlrev_b64 v[8:9], 2, v[4:5]
	v_mov_b32_e32 v1, s35
	v_add_co_u32_e32 v8, vcc, s29, v8
	v_addc_co_u32_e32 v9, vcc, v1, v9, vcc
	global_load_dword v5, v[8:9], off
	s_cbranch_execz .LBB4_458
	s_branch .LBB4_459
.LBB4_457:                              ;   in Loop: Header=BB4_159 Depth=2
                                        ; implicit-def: $vgpr5
.LBB4_458:                              ;   in Loop: Header=BB4_159 Depth=2
	s_waitcnt vmcnt(0)
	v_add_u32_e32 v5, s20, v6
.LBB4_459:                              ;   in Loop: Header=BB4_159 Depth=2
	s_or_b64 s[54:55], s[54:55], exec
	s_or_b64 exec, exec, s[52:53]
	s_and_saveexec_b64 s[52:53], s[54:55]
	s_cbranch_execnz .LBB4_466
	s_branch .LBB4_467
.LBB4_460:                              ;   in Loop: Header=BB4_159 Depth=2
                                        ; implicit-def: $vgpr5
.LBB4_461:                              ;   in Loop: Header=BB4_159 Depth=2
	s_waitcnt vmcnt(0)
	v_add_u32_e32 v5, s20, v6
.LBB4_462:                              ;   in Loop: Header=BB4_159 Depth=2
	s_mov_b64 s[58:59], exec
.LBB4_463:                              ;   in Loop: Header=BB4_159 Depth=2
	s_or_b64 exec, exec, s[56:57]
	s_and_b64 s[56:57], s[58:59], exec
.LBB4_464:                              ;   in Loop: Header=BB4_159 Depth=2
	s_or_b64 exec, exec, s[54:55]
	s_and_b64 s[54:55], s[56:57], exec
                                        ; implicit-def: $vgpr6
	s_andn2_saveexec_b64 s[52:53], s[52:53]
	s_cbranch_execnz .LBB4_453
.LBB4_465:                              ;   in Loop: Header=BB4_159 Depth=2
	s_or_b64 exec, exec, s[52:53]
	s_and_saveexec_b64 s[52:53], s[54:55]
	s_cbranch_execz .LBB4_467
.LBB4_466:                              ;   in Loop: Header=BB4_159 Depth=2
	v_ashrrev_i32_e32 v1, 31, v0
	v_lshlrev_b64 v[0:1], 2, v[0:1]
	v_mov_b32_e32 v6, s33
	v_add_co_u32_e32 v0, vcc, s21, v0
	v_addc_co_u32_e32 v1, vcc, v6, v1, vcc
	s_waitcnt vmcnt(0)
	global_store_dword v[0:1], v5, off
.LBB4_467:                              ;   in Loop: Header=BB4_159 Depth=2
	s_or_b64 exec, exec, s[52:53]
	v_cmp_gt_i32_e32 vcc, 0, v2
	v_cndmask_b32_e64 v0, v57, 0, vcc
	s_waitcnt vmcnt(0)
	v_xor_b32_e32 v5, v0, v2
	v_add_u32_e32 v1, 2, v4
	v_cmp_ge_u32_e32 vcc, v5, v38
	s_mov_b64 s[54:55], 0
                                        ; implicit-def: $vgpr2
                                        ; implicit-def: $vgpr0
	s_and_saveexec_b64 s[52:53], vcc
	s_xor_b64 s[52:53], exec, s[52:53]
	s_cbranch_execz .LBB4_474
; %bb.468:                              ;   in Loop: Header=BB4_159 Depth=2
	v_cmp_eq_u32_e32 vcc, v5, v38
	s_mov_b64 s[56:57], 0
                                        ; implicit-def: $vgpr2
                                        ; implicit-def: $vgpr0
	s_and_saveexec_b64 s[54:55], vcc
	s_cbranch_execz .LBB4_486
; %bb.469:                              ;   in Loop: Header=BB4_159 Depth=2
	s_mov_b64 s[58:59], exec
	v_mbcnt_lo_u32_b32 v0, s58, 0
	v_mbcnt_hi_u32_b32 v0, s59, v0
	v_cmp_eq_u32_e32 vcc, 0, v0
                                        ; implicit-def: $vgpr2
	s_and_saveexec_b64 s[56:57], vcc
	s_cbranch_execz .LBB4_471
; %bb.470:                              ;   in Loop: Header=BB4_159 Depth=2
	s_bcnt1_i32_b64 s42, s[58:59]
	v_mov_b32_e32 v2, s42
	global_atomic_add v2, v29, v2, s[24:25] offset:512 glc
.LBB4_471:                              ;   in Loop: Header=BB4_159 Depth=2
	s_or_b64 exec, exec, s[56:57]
	s_waitcnt vmcnt(0)
	v_readfirstlane_b32 s42, v2
	v_add_u32_e32 v5, s42, v0
	v_cmp_lt_i32_e32 vcc, v5, v39
	s_mov_b64 s[58:59], 0
                                        ; implicit-def: $vgpr2
                                        ; implicit-def: $vgpr0
	s_and_saveexec_b64 s[56:57], vcc
	s_cbranch_execz .LBB4_485
; %bb.472:                              ;   in Loop: Header=BB4_159 Depth=2
	s_andn2_b64 vcc, exec, s[26:27]
	v_xad_u32 v0, v5, -1, s69
	s_cbranch_vccnz .LBB4_482
; %bb.473:                              ;   in Loop: Header=BB4_159 Depth=2
	v_ashrrev_i32_e32 v5, 31, v4
	v_lshlrev_b64 v[6:7], 2, v[4:5]
	v_mov_b32_e32 v2, s63
	v_add_co_u32_e32 v6, vcc, s62, v6
	v_addc_co_u32_e32 v7, vcc, v2, v7, vcc
	global_load_dword v2, v[6:7], off
	s_andn2_b64 vcc, exec, s[58:59]
	s_cbranch_vccz .LBB4_483
	s_branch .LBB4_484
.LBB4_474:                              ;   in Loop: Header=BB4_159 Depth=2
	s_andn2_saveexec_b64 s[52:53], s[52:53]
	s_cbranch_execz .LBB4_487
.LBB4_475:                              ;   in Loop: Header=BB4_159 Depth=2
	s_mov_b64 s[58:59], exec
	v_mbcnt_lo_u32_b32 v0, s58, 0
	v_mbcnt_hi_u32_b32 v0, s59, v0
	v_cmp_eq_u32_e32 vcc, 0, v0
                                        ; implicit-def: $vgpr2
	s_and_saveexec_b64 s[56:57], vcc
	s_cbranch_execz .LBB4_477
; %bb.476:                              ;   in Loop: Header=BB4_159 Depth=2
	s_bcnt1_i32_b64 s42, s[58:59]
	s_waitcnt vmcnt(0)
	v_mov_b32_e32 v2, s42
	global_atomic_add v2, v29, v2, s[24:25] offset:384 glc
.LBB4_477:                              ;   in Loop: Header=BB4_159 Depth=2
	s_or_b64 exec, exec, s[56:57]
	s_waitcnt vmcnt(0)
	v_readfirstlane_b32 s42, v2
	s_andn2_b64 vcc, exec, s[26:27]
	v_add_u32_e32 v0, s42, v0
	s_cbranch_vccnz .LBB4_479
; %bb.478:                              ;   in Loop: Header=BB4_159 Depth=2
	v_ashrrev_i32_e32 v5, 31, v4
	v_lshlrev_b64 v[6:7], 2, v[4:5]
	v_mov_b32_e32 v2, s63
	v_add_co_u32_e32 v6, vcc, s62, v6
	v_addc_co_u32_e32 v7, vcc, v2, v7, vcc
	global_load_dword v2, v[6:7], off
	s_cbranch_execz .LBB4_480
	s_branch .LBB4_481
.LBB4_479:                              ;   in Loop: Header=BB4_159 Depth=2
                                        ; implicit-def: $vgpr2
.LBB4_480:                              ;   in Loop: Header=BB4_159 Depth=2
	s_waitcnt vmcnt(0)
	v_add_u32_e32 v2, s20, v1
.LBB4_481:                              ;   in Loop: Header=BB4_159 Depth=2
	s_or_b64 s[54:55], s[54:55], exec
	s_or_b64 exec, exec, s[52:53]
	s_and_saveexec_b64 s[52:53], s[54:55]
	s_cbranch_execnz .LBB4_488
	s_branch .LBB4_489
.LBB4_482:                              ;   in Loop: Header=BB4_159 Depth=2
                                        ; implicit-def: $vgpr2
.LBB4_483:                              ;   in Loop: Header=BB4_159 Depth=2
	s_waitcnt vmcnt(0)
	v_add_u32_e32 v2, s20, v1
.LBB4_484:                              ;   in Loop: Header=BB4_159 Depth=2
	s_mov_b64 s[58:59], exec
.LBB4_485:                              ;   in Loop: Header=BB4_159 Depth=2
	s_or_b64 exec, exec, s[56:57]
	s_and_b64 s[56:57], s[58:59], exec
.LBB4_486:                              ;   in Loop: Header=BB4_159 Depth=2
	s_or_b64 exec, exec, s[54:55]
	s_and_b64 s[54:55], s[56:57], exec
                                        ; implicit-def: $vgpr1
	s_andn2_saveexec_b64 s[52:53], s[52:53]
	s_cbranch_execnz .LBB4_475
.LBB4_487:                              ;   in Loop: Header=BB4_159 Depth=2
	s_or_b64 exec, exec, s[52:53]
	s_and_saveexec_b64 s[52:53], s[54:55]
	s_cbranch_execz .LBB4_489
.LBB4_488:                              ;   in Loop: Header=BB4_159 Depth=2
	v_ashrrev_i32_e32 v1, 31, v0
	v_lshlrev_b64 v[0:1], 2, v[0:1]
	v_mov_b32_e32 v5, s33
	v_add_co_u32_e32 v0, vcc, s21, v0
	v_addc_co_u32_e32 v1, vcc, v5, v1, vcc
	s_waitcnt vmcnt(0)
	global_store_dword v[0:1], v2, off
.LBB4_489:                              ;   in Loop: Header=BB4_159 Depth=2
	s_or_b64 exec, exec, s[52:53]
	v_cmp_gt_i32_e32 vcc, 0, v3
	v_cndmask_b32_e64 v0, v57, 0, vcc
	v_xor_b32_e32 v3, v0, v3
	v_add_u32_e32 v1, 3, v4
	v_cmp_ge_u32_e32 vcc, v3, v38
	s_mov_b64 s[54:55], 0
                                        ; implicit-def: $vgpr2
                                        ; implicit-def: $vgpr0
	s_and_saveexec_b64 s[52:53], vcc
	s_xor_b64 s[52:53], exec, s[52:53]
	s_cbranch_execz .LBB4_496
; %bb.490:                              ;   in Loop: Header=BB4_159 Depth=2
	v_cmp_eq_u32_e32 vcc, v3, v38
	s_mov_b64 s[56:57], 0
                                        ; implicit-def: $vgpr2
                                        ; implicit-def: $vgpr0
	s_and_saveexec_b64 s[54:55], vcc
	s_cbranch_execz .LBB4_508
; %bb.491:                              ;   in Loop: Header=BB4_159 Depth=2
	s_mov_b64 s[58:59], exec
	v_mbcnt_lo_u32_b32 v0, s58, 0
	v_mbcnt_hi_u32_b32 v0, s59, v0
	v_cmp_eq_u32_e32 vcc, 0, v0
                                        ; implicit-def: $vgpr2
	s_and_saveexec_b64 s[56:57], vcc
	s_cbranch_execz .LBB4_493
; %bb.492:                              ;   in Loop: Header=BB4_159 Depth=2
	s_bcnt1_i32_b64 s42, s[58:59]
	s_waitcnt vmcnt(0)
	v_mov_b32_e32 v2, s42
	global_atomic_add v2, v29, v2, s[24:25] offset:512 glc
.LBB4_493:                              ;   in Loop: Header=BB4_159 Depth=2
	s_or_b64 exec, exec, s[56:57]
	s_waitcnt vmcnt(0)
	v_readfirstlane_b32 s42, v2
	v_add_u32_e32 v3, s42, v0
	v_cmp_lt_i32_e32 vcc, v3, v39
	s_mov_b64 s[58:59], 0
                                        ; implicit-def: $vgpr2
                                        ; implicit-def: $vgpr0
	s_and_saveexec_b64 s[56:57], vcc
	s_cbranch_execz .LBB4_507
; %bb.494:                              ;   in Loop: Header=BB4_159 Depth=2
	s_andn2_b64 vcc, exec, s[26:27]
	v_xad_u32 v0, v3, -1, s69
	s_cbranch_vccnz .LBB4_504
; %bb.495:                              ;   in Loop: Header=BB4_159 Depth=2
	v_ashrrev_i32_e32 v5, 31, v4
	v_lshlrev_b64 v[2:3], 2, v[4:5]
	v_mov_b32_e32 v4, s65
	v_add_co_u32_e32 v2, vcc, s64, v2
	v_addc_co_u32_e32 v3, vcc, v4, v3, vcc
	global_load_dword v2, v[2:3], off
	s_andn2_b64 vcc, exec, s[58:59]
	s_cbranch_vccz .LBB4_505
	s_branch .LBB4_506
.LBB4_496:                              ;   in Loop: Header=BB4_159 Depth=2
	s_andn2_saveexec_b64 s[52:53], s[52:53]
	s_cbranch_execz .LBB4_509
.LBB4_497:                              ;   in Loop: Header=BB4_159 Depth=2
	s_mov_b64 s[58:59], exec
	v_mbcnt_lo_u32_b32 v0, s58, 0
	v_mbcnt_hi_u32_b32 v0, s59, v0
	v_cmp_eq_u32_e32 vcc, 0, v0
                                        ; implicit-def: $vgpr2
	s_and_saveexec_b64 s[56:57], vcc
	s_cbranch_execz .LBB4_499
; %bb.498:                              ;   in Loop: Header=BB4_159 Depth=2
	s_bcnt1_i32_b64 s42, s[58:59]
	s_waitcnt vmcnt(0)
	v_mov_b32_e32 v2, s42
	global_atomic_add v2, v29, v2, s[24:25] offset:384 glc
.LBB4_499:                              ;   in Loop: Header=BB4_159 Depth=2
	s_or_b64 exec, exec, s[56:57]
	s_waitcnt vmcnt(0)
	v_readfirstlane_b32 s42, v2
	s_andn2_b64 vcc, exec, s[26:27]
	v_add_u32_e32 v0, s42, v0
	s_cbranch_vccnz .LBB4_501
; %bb.500:                              ;   in Loop: Header=BB4_159 Depth=2
	v_ashrrev_i32_e32 v5, 31, v4
	v_lshlrev_b64 v[2:3], 2, v[4:5]
	v_mov_b32_e32 v4, s65
	v_add_co_u32_e32 v2, vcc, s64, v2
	v_addc_co_u32_e32 v3, vcc, v4, v3, vcc
	global_load_dword v2, v[2:3], off
	s_cbranch_execz .LBB4_502
	s_branch .LBB4_503
.LBB4_501:                              ;   in Loop: Header=BB4_159 Depth=2
                                        ; implicit-def: $vgpr2
.LBB4_502:                              ;   in Loop: Header=BB4_159 Depth=2
	s_waitcnt vmcnt(0)
	v_add_u32_e32 v2, s20, v1
.LBB4_503:                              ;   in Loop: Header=BB4_159 Depth=2
	s_or_b64 s[54:55], s[54:55], exec
	s_or_b64 exec, exec, s[52:53]
	s_and_saveexec_b64 s[52:53], s[54:55]
	s_cbranch_execz .LBB4_158
	s_branch .LBB4_510
.LBB4_504:                              ;   in Loop: Header=BB4_159 Depth=2
                                        ; implicit-def: $vgpr2
.LBB4_505:                              ;   in Loop: Header=BB4_159 Depth=2
	s_waitcnt vmcnt(0)
	v_add_u32_e32 v2, s20, v1
.LBB4_506:                              ;   in Loop: Header=BB4_159 Depth=2
	s_mov_b64 s[58:59], exec
.LBB4_507:                              ;   in Loop: Header=BB4_159 Depth=2
	s_or_b64 exec, exec, s[56:57]
	s_and_b64 s[56:57], s[58:59], exec
.LBB4_508:                              ;   in Loop: Header=BB4_159 Depth=2
	s_or_b64 exec, exec, s[54:55]
	s_and_b64 s[54:55], s[56:57], exec
                                        ; implicit-def: $vgpr1
                                        ; implicit-def: $vgpr4
	s_andn2_saveexec_b64 s[52:53], s[52:53]
	s_cbranch_execnz .LBB4_497
.LBB4_509:                              ;   in Loop: Header=BB4_159 Depth=2
	s_or_b64 exec, exec, s[52:53]
	s_and_saveexec_b64 s[52:53], s[54:55]
	s_cbranch_execz .LBB4_158
.LBB4_510:                              ;   in Loop: Header=BB4_159 Depth=2
	v_ashrrev_i32_e32 v1, 31, v0
	v_lshlrev_b64 v[0:1], 2, v[0:1]
	v_mov_b32_e32 v3, s33
	v_add_co_u32_e32 v0, vcc, s21, v0
	v_addc_co_u32_e32 v1, vcc, v3, v1, vcc
	s_waitcnt vmcnt(0)
	global_store_dword v[0:1], v2, off
	s_branch .LBB4_158
.LBB4_511:                              ;   in Loop: Header=BB4_20 Depth=1
	s_or_b64 exec, exec, s[50:51]
.LBB4_512:                              ;   in Loop: Header=BB4_20 Depth=1
	s_or_b64 exec, exec, s[6:7]
	v_cmp_gt_i32_e32 vcc, s30, v40
	s_and_saveexec_b64 s[6:7], vcc
	s_cbranch_execz .LBB4_603
; %bb.513:                              ;   in Loop: Header=BB4_20 Depth=1
	v_lshl_add_u32 v4, v40, 2, s34
	s_mov_b64 s[50:51], 0
	s_branch .LBB4_515
.LBB4_514:                              ;   in Loop: Header=BB4_515 Depth=2
	s_or_b64 exec, exec, s[52:53]
	v_add_u32_e32 v40, s28, v40
	v_cmp_le_i32_e32 vcc, s30, v40
	s_or_b64 s[50:51], vcc, s[50:51]
	v_add_u32_e32 v4, s61, v4
	s_andn2_b64 exec, exec, s[50:51]
	s_cbranch_execz .LBB4_603
.LBB4_515:                              ;   Parent Loop BB4_20 Depth=1
                                        ; =>  This Inner Loop Header: Depth=2
	v_ashrrev_i32_e32 v41, 31, v40
	v_lshlrev_b64 v[0:1], 4, v[40:41]
	s_waitcnt vmcnt(0)
	v_mov_b32_e32 v2, s66
	v_add_co_u32_e32 v0, vcc, s60, v0
	v_addc_co_u32_e32 v1, vcc, v2, v1, vcc
	global_load_dwordx4 v[0:3], v[0:1], off
	v_lshl_add_u32 v8, v40, 2, s34
	s_mov_b64 s[54:55], 0
                                        ; implicit-def: $vgpr6
	s_waitcnt vmcnt(0)
	v_cmp_gt_i32_e32 vcc, 0, v0
	v_cndmask_b32_e64 v5, v57, 0, vcc
	v_xor_b32_e32 v5, v5, v0
	s_waitcnt lgkmcnt(0)
	v_cmp_ge_u32_e32 vcc, v5, v38
                                        ; implicit-def: $vgpr0
	s_and_saveexec_b64 s[52:53], vcc
	s_xor_b64 s[52:53], exec, s[52:53]
	s_cbranch_execz .LBB4_522
; %bb.516:                              ;   in Loop: Header=BB4_515 Depth=2
	v_cmp_eq_u32_e32 vcc, v5, v38
	s_mov_b64 s[56:57], 0
                                        ; implicit-def: $vgpr0
                                        ; implicit-def: $vgpr6
	s_and_saveexec_b64 s[54:55], vcc
	s_cbranch_execz .LBB4_534
; %bb.517:                              ;   in Loop: Header=BB4_515 Depth=2
	s_mov_b64 s[58:59], exec
	v_mbcnt_lo_u32_b32 v0, s58, 0
	v_mbcnt_hi_u32_b32 v0, s59, v0
	v_cmp_eq_u32_e32 vcc, 0, v0
                                        ; implicit-def: $vgpr5
	s_and_saveexec_b64 s[56:57], vcc
	s_cbranch_execz .LBB4_519
; %bb.518:                              ;   in Loop: Header=BB4_515 Depth=2
	s_bcnt1_i32_b64 s42, s[58:59]
	v_mov_b32_e32 v5, s42
	global_atomic_add v5, v29, v5, s[24:25] offset:512 glc
.LBB4_519:                              ;   in Loop: Header=BB4_515 Depth=2
	s_or_b64 exec, exec, s[56:57]
	s_waitcnt vmcnt(0)
	v_readfirstlane_b32 s42, v5
	v_add_u32_e32 v5, s42, v0
	v_cmp_lt_i32_e32 vcc, v5, v39
	s_mov_b64 s[58:59], 0
                                        ; implicit-def: $vgpr0
                                        ; implicit-def: $vgpr6
	s_and_saveexec_b64 s[56:57], vcc
	s_xor_b64 s[56:57], exec, s[56:57]
	s_cbranch_execz .LBB4_533
; %bb.520:                              ;   in Loop: Header=BB4_515 Depth=2
	s_andn2_b64 vcc, exec, s[26:27]
	v_xad_u32 v6, v5, -1, s69
	s_cbranch_vccnz .LBB4_530
; %bb.521:                              ;   in Loop: Header=BB4_515 Depth=2
	v_ashrrev_i32_e32 v5, 31, v4
	v_lshlrev_b64 v[10:11], 2, v[4:5]
	v_mov_b32_e32 v0, s23
	v_add_co_u32_e32 v10, vcc, s22, v10
	v_addc_co_u32_e32 v11, vcc, v0, v11, vcc
	global_load_dword v0, v[10:11], off
	s_andn2_b64 vcc, exec, s[58:59]
	s_cbranch_vccz .LBB4_531
	s_branch .LBB4_532
.LBB4_522:                              ;   in Loop: Header=BB4_515 Depth=2
	s_andn2_saveexec_b64 s[52:53], s[52:53]
	s_cbranch_execz .LBB4_535
.LBB4_523:                              ;   in Loop: Header=BB4_515 Depth=2
	s_mov_b64 s[58:59], exec
	s_waitcnt vmcnt(0)
	v_mbcnt_lo_u32_b32 v0, s58, 0
	v_mbcnt_hi_u32_b32 v0, s59, v0
	v_cmp_eq_u32_e32 vcc, 0, v0
                                        ; implicit-def: $vgpr5
	s_and_saveexec_b64 s[56:57], vcc
	s_cbranch_execz .LBB4_525
; %bb.524:                              ;   in Loop: Header=BB4_515 Depth=2
	s_bcnt1_i32_b64 s42, s[58:59]
	v_mov_b32_e32 v5, s42
	global_atomic_add v5, v29, v5, s[24:25] offset:384 glc
.LBB4_525:                              ;   in Loop: Header=BB4_515 Depth=2
	s_or_b64 exec, exec, s[56:57]
	s_waitcnt vmcnt(0)
	v_readfirstlane_b32 s42, v5
	s_andn2_b64 vcc, exec, s[26:27]
	v_add_u32_e32 v6, s42, v0
	s_cbranch_vccnz .LBB4_527
; %bb.526:                              ;   in Loop: Header=BB4_515 Depth=2
	v_ashrrev_i32_e32 v5, 31, v4
	v_lshlrev_b64 v[10:11], 2, v[4:5]
	v_mov_b32_e32 v0, s23
	v_add_co_u32_e32 v10, vcc, s22, v10
	v_addc_co_u32_e32 v11, vcc, v0, v11, vcc
	global_load_dword v0, v[10:11], off
	s_cbranch_execz .LBB4_528
	s_branch .LBB4_529
.LBB4_527:                              ;   in Loop: Header=BB4_515 Depth=2
                                        ; implicit-def: $vgpr0
.LBB4_528:                              ;   in Loop: Header=BB4_515 Depth=2
	s_waitcnt vmcnt(0)
	v_add_u32_e32 v0, s20, v4
.LBB4_529:                              ;   in Loop: Header=BB4_515 Depth=2
	s_or_b64 s[54:55], s[54:55], exec
	s_or_b64 exec, exec, s[52:53]
	s_and_saveexec_b64 s[52:53], s[54:55]
	s_cbranch_execnz .LBB4_536
	s_branch .LBB4_537
.LBB4_530:                              ;   in Loop: Header=BB4_515 Depth=2
                                        ; implicit-def: $vgpr0
.LBB4_531:                              ;   in Loop: Header=BB4_515 Depth=2
	s_waitcnt vmcnt(0)
	v_add_u32_e32 v0, s20, v8
.LBB4_532:                              ;   in Loop: Header=BB4_515 Depth=2
	s_mov_b64 s[58:59], exec
.LBB4_533:                              ;   in Loop: Header=BB4_515 Depth=2
	s_or_b64 exec, exec, s[56:57]
	s_and_b64 s[56:57], s[58:59], exec
.LBB4_534:                              ;   in Loop: Header=BB4_515 Depth=2
	s_or_b64 exec, exec, s[54:55]
	s_and_b64 s[54:55], s[56:57], exec
	s_andn2_saveexec_b64 s[52:53], s[52:53]
	s_cbranch_execnz .LBB4_523
.LBB4_535:                              ;   in Loop: Header=BB4_515 Depth=2
	s_or_b64 exec, exec, s[52:53]
	s_and_saveexec_b64 s[52:53], s[54:55]
	s_cbranch_execz .LBB4_537
.LBB4_536:                              ;   in Loop: Header=BB4_515 Depth=2
	v_ashrrev_i32_e32 v7, 31, v6
	v_lshlrev_b64 v[6:7], 2, v[6:7]
	v_mov_b32_e32 v5, s33
	v_add_co_u32_e32 v6, vcc, s21, v6
	v_addc_co_u32_e32 v7, vcc, v5, v7, vcc
	s_waitcnt vmcnt(0)
	global_store_dword v[6:7], v0, off
.LBB4_537:                              ;   in Loop: Header=BB4_515 Depth=2
	s_or_b64 exec, exec, s[52:53]
	v_cmp_gt_i32_e32 vcc, 0, v1
	s_waitcnt vmcnt(0)
	v_cndmask_b32_e64 v0, v57, 0, vcc
	v_xor_b32_e32 v1, v0, v1
	v_cmp_ge_u32_e32 vcc, v1, v38
	s_mov_b64 s[54:55], 0
                                        ; implicit-def: $vgpr5
                                        ; implicit-def: $vgpr0
	s_and_saveexec_b64 s[52:53], vcc
	s_xor_b64 s[52:53], exec, s[52:53]
	s_cbranch_execz .LBB4_544
; %bb.538:                              ;   in Loop: Header=BB4_515 Depth=2
	v_cmp_eq_u32_e32 vcc, v1, v38
	s_mov_b64 s[56:57], 0
                                        ; implicit-def: $vgpr5
                                        ; implicit-def: $vgpr0
	s_and_saveexec_b64 s[54:55], vcc
	s_cbranch_execz .LBB4_556
; %bb.539:                              ;   in Loop: Header=BB4_515 Depth=2
	s_mov_b64 s[58:59], exec
	v_mbcnt_lo_u32_b32 v0, s58, 0
	v_mbcnt_hi_u32_b32 v0, s59, v0
	v_cmp_eq_u32_e32 vcc, 0, v0
                                        ; implicit-def: $vgpr1
	s_and_saveexec_b64 s[56:57], vcc
	s_cbranch_execz .LBB4_541
; %bb.540:                              ;   in Loop: Header=BB4_515 Depth=2
	s_bcnt1_i32_b64 s42, s[58:59]
	v_mov_b32_e32 v1, s42
	global_atomic_add v1, v29, v1, s[24:25] offset:512 glc
.LBB4_541:                              ;   in Loop: Header=BB4_515 Depth=2
	s_or_b64 exec, exec, s[56:57]
	s_waitcnt vmcnt(0)
	v_readfirstlane_b32 s42, v1
	v_add_u32_e32 v1, s42, v0
	v_cmp_lt_i32_e32 vcc, v1, v39
	s_mov_b64 s[58:59], 0
                                        ; implicit-def: $vgpr5
                                        ; implicit-def: $vgpr0
	s_and_saveexec_b64 s[56:57], vcc
	s_cbranch_execz .LBB4_555
; %bb.542:                              ;   in Loop: Header=BB4_515 Depth=2
	s_andn2_b64 vcc, exec, s[26:27]
	v_xad_u32 v0, v1, -1, s69
	s_cbranch_vccnz .LBB4_552
; %bb.543:                              ;   in Loop: Header=BB4_515 Depth=2
	v_ashrrev_i32_e32 v5, 31, v4
	v_lshlrev_b64 v[6:7], 2, v[4:5]
	v_mov_b32_e32 v1, s35
	v_add_co_u32_e32 v6, vcc, s29, v6
	v_addc_co_u32_e32 v7, vcc, v1, v7, vcc
	global_load_dword v5, v[6:7], off
	s_andn2_b64 vcc, exec, s[58:59]
	s_cbranch_vccz .LBB4_553
	s_branch .LBB4_554
.LBB4_544:                              ;   in Loop: Header=BB4_515 Depth=2
	s_andn2_saveexec_b64 s[52:53], s[52:53]
	s_cbranch_execz .LBB4_557
.LBB4_545:                              ;   in Loop: Header=BB4_515 Depth=2
	s_mov_b64 s[58:59], exec
	v_mbcnt_lo_u32_b32 v0, s58, 0
	v_mbcnt_hi_u32_b32 v0, s59, v0
	v_cmp_eq_u32_e32 vcc, 0, v0
                                        ; implicit-def: $vgpr1
	s_and_saveexec_b64 s[56:57], vcc
	s_cbranch_execz .LBB4_547
; %bb.546:                              ;   in Loop: Header=BB4_515 Depth=2
	s_bcnt1_i32_b64 s42, s[58:59]
	v_mov_b32_e32 v1, s42
	global_atomic_add v1, v29, v1, s[24:25] offset:384 glc
.LBB4_547:                              ;   in Loop: Header=BB4_515 Depth=2
	s_or_b64 exec, exec, s[56:57]
	s_waitcnt vmcnt(0)
	v_readfirstlane_b32 s42, v1
	s_andn2_b64 vcc, exec, s[26:27]
	v_add_u32_e32 v0, s42, v0
	s_cbranch_vccnz .LBB4_549
; %bb.548:                              ;   in Loop: Header=BB4_515 Depth=2
	v_ashrrev_i32_e32 v5, 31, v4
	v_lshlrev_b64 v[6:7], 2, v[4:5]
	v_mov_b32_e32 v1, s35
	v_add_co_u32_e32 v6, vcc, s29, v6
	v_addc_co_u32_e32 v7, vcc, v1, v7, vcc
	global_load_dword v5, v[6:7], off
	s_cbranch_execz .LBB4_550
	s_branch .LBB4_551
.LBB4_549:                              ;   in Loop: Header=BB4_515 Depth=2
                                        ; implicit-def: $vgpr5
.LBB4_550:                              ;   in Loop: Header=BB4_515 Depth=2
	s_waitcnt vmcnt(0)
	v_add3_u32 v5, s20, v4, 1
.LBB4_551:                              ;   in Loop: Header=BB4_515 Depth=2
	s_or_b64 s[54:55], s[54:55], exec
	s_or_b64 exec, exec, s[52:53]
	s_and_saveexec_b64 s[52:53], s[54:55]
	s_cbranch_execnz .LBB4_558
	s_branch .LBB4_559
.LBB4_552:                              ;   in Loop: Header=BB4_515 Depth=2
                                        ; implicit-def: $vgpr5
.LBB4_553:                              ;   in Loop: Header=BB4_515 Depth=2
	s_waitcnt vmcnt(0)
	v_add3_u32 v5, v8, s20, 1
.LBB4_554:                              ;   in Loop: Header=BB4_515 Depth=2
	s_mov_b64 s[58:59], exec
.LBB4_555:                              ;   in Loop: Header=BB4_515 Depth=2
	s_or_b64 exec, exec, s[56:57]
	s_and_b64 s[56:57], s[58:59], exec
.LBB4_556:                              ;   in Loop: Header=BB4_515 Depth=2
	s_or_b64 exec, exec, s[54:55]
	s_and_b64 s[54:55], s[56:57], exec
	s_andn2_saveexec_b64 s[52:53], s[52:53]
	s_cbranch_execnz .LBB4_545
.LBB4_557:                              ;   in Loop: Header=BB4_515 Depth=2
	s_or_b64 exec, exec, s[52:53]
	s_and_saveexec_b64 s[52:53], s[54:55]
	s_cbranch_execz .LBB4_559
.LBB4_558:                              ;   in Loop: Header=BB4_515 Depth=2
	v_ashrrev_i32_e32 v1, 31, v0
	v_lshlrev_b64 v[0:1], 2, v[0:1]
	v_mov_b32_e32 v6, s33
	v_add_co_u32_e32 v0, vcc, s21, v0
	v_addc_co_u32_e32 v1, vcc, v6, v1, vcc
	s_waitcnt vmcnt(0)
	global_store_dword v[0:1], v5, off
.LBB4_559:                              ;   in Loop: Header=BB4_515 Depth=2
	s_or_b64 exec, exec, s[52:53]
	v_cmp_gt_i32_e32 vcc, 0, v2
	v_cndmask_b32_e64 v0, v57, 0, vcc
	v_xor_b32_e32 v1, v0, v2
	v_cmp_ge_u32_e32 vcc, v1, v38
	s_mov_b64 s[54:55], 0
                                        ; implicit-def: $vgpr2
                                        ; implicit-def: $vgpr0
	s_and_saveexec_b64 s[52:53], vcc
	s_xor_b64 s[52:53], exec, s[52:53]
	s_cbranch_execz .LBB4_566
; %bb.560:                              ;   in Loop: Header=BB4_515 Depth=2
	v_cmp_eq_u32_e32 vcc, v1, v38
	s_mov_b64 s[56:57], 0
                                        ; implicit-def: $vgpr2
                                        ; implicit-def: $vgpr0
	s_and_saveexec_b64 s[54:55], vcc
	s_cbranch_execz .LBB4_578
; %bb.561:                              ;   in Loop: Header=BB4_515 Depth=2
	s_mov_b64 s[58:59], exec
	v_mbcnt_lo_u32_b32 v0, s58, 0
	v_mbcnt_hi_u32_b32 v0, s59, v0
	v_cmp_eq_u32_e32 vcc, 0, v0
                                        ; implicit-def: $vgpr1
	s_and_saveexec_b64 s[56:57], vcc
	s_cbranch_execz .LBB4_563
; %bb.562:                              ;   in Loop: Header=BB4_515 Depth=2
	s_bcnt1_i32_b64 s42, s[58:59]
	v_mov_b32_e32 v1, s42
	global_atomic_add v1, v29, v1, s[24:25] offset:512 glc
.LBB4_563:                              ;   in Loop: Header=BB4_515 Depth=2
	s_or_b64 exec, exec, s[56:57]
	s_waitcnt vmcnt(0)
	v_readfirstlane_b32 s42, v1
	v_add_u32_e32 v1, s42, v0
	v_cmp_lt_i32_e32 vcc, v1, v39
	s_mov_b64 s[58:59], 0
                                        ; implicit-def: $vgpr2
                                        ; implicit-def: $vgpr0
	s_and_saveexec_b64 s[56:57], vcc
	s_cbranch_execz .LBB4_577
; %bb.564:                              ;   in Loop: Header=BB4_515 Depth=2
	s_andn2_b64 vcc, exec, s[26:27]
	v_xad_u32 v0, v1, -1, s69
	s_cbranch_vccnz .LBB4_574
; %bb.565:                              ;   in Loop: Header=BB4_515 Depth=2
	v_ashrrev_i32_e32 v5, 31, v4
	v_lshlrev_b64 v[6:7], 2, v[4:5]
	v_mov_b32_e32 v1, s63
	v_add_co_u32_e32 v6, vcc, s62, v6
	v_addc_co_u32_e32 v7, vcc, v1, v7, vcc
	global_load_dword v2, v[6:7], off
	s_andn2_b64 vcc, exec, s[58:59]
	s_cbranch_vccz .LBB4_575
	s_branch .LBB4_576
.LBB4_566:                              ;   in Loop: Header=BB4_515 Depth=2
	s_andn2_saveexec_b64 s[52:53], s[52:53]
	s_cbranch_execz .LBB4_579
.LBB4_567:                              ;   in Loop: Header=BB4_515 Depth=2
	s_mov_b64 s[58:59], exec
	v_mbcnt_lo_u32_b32 v0, s58, 0
	v_mbcnt_hi_u32_b32 v0, s59, v0
	v_cmp_eq_u32_e32 vcc, 0, v0
                                        ; implicit-def: $vgpr1
	s_and_saveexec_b64 s[56:57], vcc
	s_cbranch_execz .LBB4_569
; %bb.568:                              ;   in Loop: Header=BB4_515 Depth=2
	s_bcnt1_i32_b64 s42, s[58:59]
	v_mov_b32_e32 v1, s42
	global_atomic_add v1, v29, v1, s[24:25] offset:384 glc
.LBB4_569:                              ;   in Loop: Header=BB4_515 Depth=2
	s_or_b64 exec, exec, s[56:57]
	s_waitcnt vmcnt(0)
	v_readfirstlane_b32 s42, v1
	s_andn2_b64 vcc, exec, s[26:27]
	v_add_u32_e32 v0, s42, v0
	s_cbranch_vccnz .LBB4_571
; %bb.570:                              ;   in Loop: Header=BB4_515 Depth=2
	v_ashrrev_i32_e32 v5, 31, v4
	v_lshlrev_b64 v[6:7], 2, v[4:5]
	v_mov_b32_e32 v1, s63
	v_add_co_u32_e32 v6, vcc, s62, v6
	v_addc_co_u32_e32 v7, vcc, v1, v7, vcc
	global_load_dword v2, v[6:7], off
	s_cbranch_execz .LBB4_572
	s_branch .LBB4_573
.LBB4_571:                              ;   in Loop: Header=BB4_515 Depth=2
                                        ; implicit-def: $vgpr2
.LBB4_572:                              ;   in Loop: Header=BB4_515 Depth=2
	s_waitcnt vmcnt(0)
	v_add3_u32 v2, s20, v4, 2
.LBB4_573:                              ;   in Loop: Header=BB4_515 Depth=2
	s_or_b64 s[54:55], s[54:55], exec
	s_or_b64 exec, exec, s[52:53]
	s_and_saveexec_b64 s[52:53], s[54:55]
	s_cbranch_execnz .LBB4_580
	s_branch .LBB4_581
.LBB4_574:                              ;   in Loop: Header=BB4_515 Depth=2
                                        ; implicit-def: $vgpr2
.LBB4_575:                              ;   in Loop: Header=BB4_515 Depth=2
	s_waitcnt vmcnt(0)
	v_add3_u32 v2, v8, s20, 2
.LBB4_576:                              ;   in Loop: Header=BB4_515 Depth=2
	s_mov_b64 s[58:59], exec
.LBB4_577:                              ;   in Loop: Header=BB4_515 Depth=2
	s_or_b64 exec, exec, s[56:57]
	s_and_b64 s[56:57], s[58:59], exec
.LBB4_578:                              ;   in Loop: Header=BB4_515 Depth=2
	s_or_b64 exec, exec, s[54:55]
	s_and_b64 s[54:55], s[56:57], exec
	s_andn2_saveexec_b64 s[52:53], s[52:53]
	s_cbranch_execnz .LBB4_567
.LBB4_579:                              ;   in Loop: Header=BB4_515 Depth=2
	s_or_b64 exec, exec, s[52:53]
	s_and_saveexec_b64 s[52:53], s[54:55]
	s_cbranch_execz .LBB4_581
.LBB4_580:                              ;   in Loop: Header=BB4_515 Depth=2
	v_ashrrev_i32_e32 v1, 31, v0
	v_lshlrev_b64 v[0:1], 2, v[0:1]
	s_waitcnt vmcnt(0)
	v_mov_b32_e32 v5, s33
	v_add_co_u32_e32 v0, vcc, s21, v0
	v_addc_co_u32_e32 v1, vcc, v5, v1, vcc
	global_store_dword v[0:1], v2, off
.LBB4_581:                              ;   in Loop: Header=BB4_515 Depth=2
	s_or_b64 exec, exec, s[52:53]
	v_cmp_gt_i32_e32 vcc, 0, v3
	v_cndmask_b32_e64 v0, v57, 0, vcc
	v_xor_b32_e32 v1, v0, v3
	v_cmp_ge_u32_e32 vcc, v1, v38
	s_mov_b64 s[54:55], 0
                                        ; implicit-def: $vgpr2
                                        ; implicit-def: $vgpr0
	s_and_saveexec_b64 s[52:53], vcc
	s_xor_b64 s[52:53], exec, s[52:53]
	s_cbranch_execz .LBB4_588
; %bb.582:                              ;   in Loop: Header=BB4_515 Depth=2
	v_cmp_eq_u32_e32 vcc, v1, v38
	s_mov_b64 s[56:57], 0
                                        ; implicit-def: $vgpr2
                                        ; implicit-def: $vgpr0
	s_and_saveexec_b64 s[54:55], vcc
	s_cbranch_execz .LBB4_600
; %bb.583:                              ;   in Loop: Header=BB4_515 Depth=2
	s_mov_b64 s[58:59], exec
	v_mbcnt_lo_u32_b32 v0, s58, 0
	v_mbcnt_hi_u32_b32 v0, s59, v0
	v_cmp_eq_u32_e32 vcc, 0, v0
                                        ; implicit-def: $vgpr1
	s_and_saveexec_b64 s[56:57], vcc
	s_cbranch_execz .LBB4_585
; %bb.584:                              ;   in Loop: Header=BB4_515 Depth=2
	s_bcnt1_i32_b64 s42, s[58:59]
	v_mov_b32_e32 v1, s42
	global_atomic_add v1, v29, v1, s[24:25] offset:512 glc
.LBB4_585:                              ;   in Loop: Header=BB4_515 Depth=2
	s_or_b64 exec, exec, s[56:57]
	s_waitcnt vmcnt(0)
	v_readfirstlane_b32 s42, v1
	v_add_u32_e32 v1, s42, v0
	v_cmp_lt_i32_e32 vcc, v1, v39
	s_mov_b64 s[58:59], 0
                                        ; implicit-def: $vgpr2
                                        ; implicit-def: $vgpr0
	s_and_saveexec_b64 s[56:57], vcc
	s_cbranch_execz .LBB4_599
; %bb.586:                              ;   in Loop: Header=BB4_515 Depth=2
	s_andn2_b64 vcc, exec, s[26:27]
	v_xad_u32 v0, v1, -1, s69
	s_cbranch_vccnz .LBB4_596
; %bb.587:                              ;   in Loop: Header=BB4_515 Depth=2
	v_ashrrev_i32_e32 v5, 31, v4
	v_lshlrev_b64 v[2:3], 2, v[4:5]
	v_mov_b32_e32 v1, s65
	v_add_co_u32_e32 v2, vcc, s64, v2
	v_addc_co_u32_e32 v3, vcc, v1, v3, vcc
	global_load_dword v2, v[2:3], off
	s_andn2_b64 vcc, exec, s[58:59]
	s_cbranch_vccz .LBB4_597
	s_branch .LBB4_598
.LBB4_588:                              ;   in Loop: Header=BB4_515 Depth=2
	s_andn2_saveexec_b64 s[52:53], s[52:53]
	s_cbranch_execz .LBB4_601
.LBB4_589:                              ;   in Loop: Header=BB4_515 Depth=2
	s_mov_b64 s[58:59], exec
	v_mbcnt_lo_u32_b32 v0, s58, 0
	v_mbcnt_hi_u32_b32 v0, s59, v0
	v_cmp_eq_u32_e32 vcc, 0, v0
                                        ; implicit-def: $vgpr1
	s_and_saveexec_b64 s[56:57], vcc
	s_cbranch_execz .LBB4_591
; %bb.590:                              ;   in Loop: Header=BB4_515 Depth=2
	s_bcnt1_i32_b64 s42, s[58:59]
	v_mov_b32_e32 v1, s42
	global_atomic_add v1, v29, v1, s[24:25] offset:384 glc
.LBB4_591:                              ;   in Loop: Header=BB4_515 Depth=2
	s_or_b64 exec, exec, s[56:57]
	s_waitcnt vmcnt(0)
	v_readfirstlane_b32 s42, v1
	s_andn2_b64 vcc, exec, s[26:27]
	v_add_u32_e32 v0, s42, v0
	s_cbranch_vccnz .LBB4_593
; %bb.592:                              ;   in Loop: Header=BB4_515 Depth=2
	v_ashrrev_i32_e32 v5, 31, v4
	v_lshlrev_b64 v[2:3], 2, v[4:5]
	v_mov_b32_e32 v1, s65
	v_add_co_u32_e32 v2, vcc, s64, v2
	v_addc_co_u32_e32 v3, vcc, v1, v3, vcc
	global_load_dword v2, v[2:3], off
	s_cbranch_execz .LBB4_594
	s_branch .LBB4_595
.LBB4_593:                              ;   in Loop: Header=BB4_515 Depth=2
                                        ; implicit-def: $vgpr2
.LBB4_594:                              ;   in Loop: Header=BB4_515 Depth=2
	s_waitcnt vmcnt(0)
	v_add3_u32 v2, s20, v4, 3
.LBB4_595:                              ;   in Loop: Header=BB4_515 Depth=2
	s_or_b64 s[54:55], s[54:55], exec
	s_or_b64 exec, exec, s[52:53]
	s_and_saveexec_b64 s[52:53], s[54:55]
	s_cbranch_execz .LBB4_514
	s_branch .LBB4_602
.LBB4_596:                              ;   in Loop: Header=BB4_515 Depth=2
                                        ; implicit-def: $vgpr2
.LBB4_597:                              ;   in Loop: Header=BB4_515 Depth=2
	s_waitcnt vmcnt(0)
	v_add3_u32 v2, v8, s20, 3
.LBB4_598:                              ;   in Loop: Header=BB4_515 Depth=2
	s_mov_b64 s[58:59], exec
.LBB4_599:                              ;   in Loop: Header=BB4_515 Depth=2
	s_or_b64 exec, exec, s[56:57]
	s_and_b64 s[56:57], s[58:59], exec
.LBB4_600:                              ;   in Loop: Header=BB4_515 Depth=2
	s_or_b64 exec, exec, s[54:55]
	s_and_b64 s[54:55], s[56:57], exec
	s_andn2_saveexec_b64 s[52:53], s[52:53]
	s_cbranch_execnz .LBB4_589
.LBB4_601:                              ;   in Loop: Header=BB4_515 Depth=2
	s_or_b64 exec, exec, s[52:53]
	s_and_saveexec_b64 s[52:53], s[54:55]
	s_cbranch_execz .LBB4_514
.LBB4_602:                              ;   in Loop: Header=BB4_515 Depth=2
	v_ashrrev_i32_e32 v1, 31, v0
	v_lshlrev_b64 v[0:1], 2, v[0:1]
	v_mov_b32_e32 v3, s33
	v_add_co_u32_e32 v0, vcc, s21, v0
	v_addc_co_u32_e32 v1, vcc, v3, v1, vcc
	s_waitcnt vmcnt(0)
	global_store_dword v[0:1], v2, off
	s_branch .LBB4_514
.LBB4_603:                              ;   in Loop: Header=BB4_20 Depth=1
	s_or_b64 exec, exec, s[6:7]
	s_and_saveexec_b64 s[6:7], s[2:3]
	s_cbranch_execz .LBB4_620
; %bb.604:                              ;   in Loop: Header=BB4_20 Depth=1
	global_load_dword v0, v[16:17], off
	s_mov_b64 s[54:55], 0
	s_mov_b64 s[52:53], 0
                                        ; implicit-def: $vgpr2
	s_waitcnt vmcnt(0)
	v_cmp_gt_i32_e32 vcc, 0, v0
	v_cndmask_b32_e64 v1, v57, 0, vcc
	v_xor_b32_e32 v1, v1, v0
	s_waitcnt lgkmcnt(0)
	v_cmp_ge_u32_e32 vcc, v1, v38
                                        ; implicit-def: $vgpr0
	s_and_saveexec_b64 s[50:51], vcc
	s_xor_b64 s[50:51], exec, s[50:51]
	s_cbranch_execz .LBB4_614
; %bb.605:                              ;   in Loop: Header=BB4_20 Depth=1
	v_cmp_eq_u32_e32 vcc, v1, v38
	s_mov_b64 s[56:57], 0
                                        ; implicit-def: $vgpr0
	s_and_saveexec_b64 s[52:53], vcc
	s_cbranch_execz .LBB4_611
; %bb.606:                              ;   in Loop: Header=BB4_20 Depth=1
	s_mov_b64 s[56:57], exec
	v_mbcnt_lo_u32_b32 v0, s56, 0
	v_mbcnt_hi_u32_b32 v0, s57, v0
	v_cmp_eq_u32_e32 vcc, 0, v0
                                        ; implicit-def: $vgpr1
	s_and_saveexec_b64 s[54:55], vcc
	s_cbranch_execz .LBB4_608
; %bb.607:                              ;   in Loop: Header=BB4_20 Depth=1
	s_bcnt1_i32_b64 s42, s[56:57]
	v_mov_b32_e32 v1, s42
	global_atomic_add v1, v29, v1, s[24:25] offset:512 glc
.LBB4_608:                              ;   in Loop: Header=BB4_20 Depth=1
	s_or_b64 exec, exec, s[54:55]
	s_waitcnt vmcnt(0)
	v_readfirstlane_b32 s42, v1
	v_add_u32_e32 v1, s42, v0
	v_cmp_lt_i32_e32 vcc, v1, v39
	s_mov_b64 s[54:55], 0
	s_mov_b64 s[56:57], 0
                                        ; implicit-def: $vgpr0
	s_and_saveexec_b64 s[58:59], vcc
	s_xor_b64 s[58:59], exec, s[58:59]
; %bb.609:                              ;   in Loop: Header=BB4_20 Depth=1
	v_xad_u32 v0, v1, -1, s69
	s_and_b64 s[56:57], s[44:45], exec
	s_and_b64 s[54:55], s[26:27], exec
; %bb.610:                              ;   in Loop: Header=BB4_20 Depth=1
	s_or_b64 exec, exec, s[58:59]
	s_and_b64 s[56:57], s[56:57], exec
	s_and_b64 s[54:55], s[54:55], exec
.LBB4_611:                              ;   in Loop: Header=BB4_20 Depth=1
	s_or_b64 exec, exec, s[52:53]
	s_and_b64 s[52:53], s[56:57], exec
	s_and_b64 s[54:55], s[54:55], exec
	v_mov_b32_e32 v2, v48
	s_andn2_saveexec_b64 s[50:51], s[50:51]
	s_cbranch_execnz .LBB4_615
.LBB4_612:                              ;   in Loop: Header=BB4_20 Depth=1
	s_or_b64 exec, exec, s[50:51]
	s_and_saveexec_b64 s[50:51], s[54:55]
	s_cbranch_execz .LBB4_618
.LBB4_613:                              ;   in Loop: Header=BB4_20 Depth=1
	global_load_dword v2, v[18:19], off
	s_or_b64 s[52:53], s[52:53], exec
	s_or_b64 exec, exec, s[50:51]
	s_and_b64 exec, exec, s[52:53]
	s_cbranch_execnz .LBB4_619
	s_branch .LBB4_620
.LBB4_614:                              ;   in Loop: Header=BB4_20 Depth=1
	s_andn2_saveexec_b64 s[50:51], s[50:51]
	s_cbranch_execz .LBB4_612
.LBB4_615:                              ;   in Loop: Header=BB4_20 Depth=1
	s_mov_b64 s[58:59], exec
	v_mbcnt_lo_u32_b32 v0, s58, 0
	v_mbcnt_hi_u32_b32 v0, s59, v0
	v_cmp_eq_u32_e32 vcc, 0, v0
                                        ; implicit-def: $vgpr1
	s_and_saveexec_b64 s[56:57], vcc
	s_cbranch_execz .LBB4_617
; %bb.616:                              ;   in Loop: Header=BB4_20 Depth=1
	s_bcnt1_i32_b64 s42, s[58:59]
	v_mov_b32_e32 v1, s42
	global_atomic_add v1, v29, v1, s[24:25] offset:384 glc
.LBB4_617:                              ;   in Loop: Header=BB4_20 Depth=1
	s_or_b64 exec, exec, s[56:57]
	s_andn2_b64 s[52:53], s[52:53], exec
	s_and_b64 s[56:57], s[44:45], exec
	s_waitcnt vmcnt(0)
	v_readfirstlane_b32 s42, v1
	s_or_b64 s[52:53], s[52:53], s[56:57]
	s_andn2_b64 s[54:55], s[54:55], exec
	s_and_b64 s[56:57], s[26:27], exec
	v_add_u32_e32 v0, s42, v0
	s_or_b64 s[54:55], s[54:55], s[56:57]
	v_mov_b32_e32 v2, v48
	s_or_b64 exec, exec, s[50:51]
	s_and_saveexec_b64 s[50:51], s[54:55]
	s_cbranch_execnz .LBB4_613
.LBB4_618:                              ;   in Loop: Header=BB4_20 Depth=1
	s_or_b64 exec, exec, s[50:51]
	s_and_b64 exec, exec, s[52:53]
	s_cbranch_execz .LBB4_620
.LBB4_619:                              ;   in Loop: Header=BB4_20 Depth=1
	v_ashrrev_i32_e32 v1, 31, v0
	v_lshlrev_b64 v[0:1], 2, v[0:1]
	v_mov_b32_e32 v3, s33
	v_add_co_u32_e32 v0, vcc, s21, v0
	v_addc_co_u32_e32 v1, vcc, v3, v1, vcc
	s_waitcnt vmcnt(0)
	global_store_dword v[0:1], v2, off
.LBB4_620:                              ;   in Loop: Header=BB4_20 Depth=1
	s_or_b64 exec, exec, s[6:7]
	s_and_saveexec_b64 s[6:7], s[0:1]
	s_cbranch_execz .LBB4_637
; %bb.621:                              ;   in Loop: Header=BB4_20 Depth=1
	global_load_dword v0, v[14:15], off
	s_mov_b64 s[54:55], 0
	s_mov_b64 s[52:53], 0
                                        ; implicit-def: $vgpr2
	s_waitcnt vmcnt(0)
	v_cmp_gt_i32_e32 vcc, 0, v0
	v_cndmask_b32_e64 v1, v57, 0, vcc
	v_xor_b32_e32 v1, v1, v0
	s_waitcnt lgkmcnt(0)
	v_cmp_ge_u32_e32 vcc, v1, v38
                                        ; implicit-def: $vgpr0
	s_and_saveexec_b64 s[50:51], vcc
	s_xor_b64 s[50:51], exec, s[50:51]
	s_cbranch_execz .LBB4_631
; %bb.622:                              ;   in Loop: Header=BB4_20 Depth=1
	v_cmp_eq_u32_e32 vcc, v1, v38
	s_mov_b64 s[56:57], 0
                                        ; implicit-def: $vgpr0
	s_and_saveexec_b64 s[52:53], vcc
	s_cbranch_execz .LBB4_628
; %bb.623:                              ;   in Loop: Header=BB4_20 Depth=1
	s_mov_b64 s[56:57], exec
	v_mbcnt_lo_u32_b32 v0, s56, 0
	v_mbcnt_hi_u32_b32 v0, s57, v0
	v_cmp_eq_u32_e32 vcc, 0, v0
                                        ; implicit-def: $vgpr1
	s_and_saveexec_b64 s[54:55], vcc
	s_cbranch_execz .LBB4_625
; %bb.624:                              ;   in Loop: Header=BB4_20 Depth=1
	s_bcnt1_i32_b64 s42, s[56:57]
	v_mov_b32_e32 v1, s42
	global_atomic_add v1, v29, v1, s[24:25] offset:512 glc
.LBB4_625:                              ;   in Loop: Header=BB4_20 Depth=1
	s_or_b64 exec, exec, s[54:55]
	s_waitcnt vmcnt(0)
	v_readfirstlane_b32 s42, v1
	v_add_u32_e32 v1, s42, v0
	v_cmp_lt_i32_e32 vcc, v1, v39
	s_mov_b64 s[54:55], 0
	s_mov_b64 s[56:57], 0
                                        ; implicit-def: $vgpr0
	s_and_saveexec_b64 s[58:59], vcc
	s_xor_b64 s[58:59], exec, s[58:59]
; %bb.626:                              ;   in Loop: Header=BB4_20 Depth=1
	v_xad_u32 v0, v1, -1, s69
	s_and_b64 s[56:57], s[44:45], exec
	s_and_b64 s[54:55], s[26:27], exec
; %bb.627:                              ;   in Loop: Header=BB4_20 Depth=1
	s_or_b64 exec, exec, s[58:59]
	s_and_b64 s[56:57], s[56:57], exec
	s_and_b64 s[54:55], s[54:55], exec
.LBB4_628:                              ;   in Loop: Header=BB4_20 Depth=1
	s_or_b64 exec, exec, s[52:53]
	s_and_b64 s[52:53], s[56:57], exec
	s_and_b64 s[54:55], s[54:55], exec
	v_mov_b32_e32 v2, v27
	s_andn2_saveexec_b64 s[50:51], s[50:51]
	s_cbranch_execnz .LBB4_632
.LBB4_629:                              ;   in Loop: Header=BB4_20 Depth=1
	s_or_b64 exec, exec, s[50:51]
	s_and_saveexec_b64 s[50:51], s[54:55]
	s_cbranch_execz .LBB4_635
.LBB4_630:                              ;   in Loop: Header=BB4_20 Depth=1
	global_load_dword v2, v[12:13], off
	s_or_b64 s[52:53], s[52:53], exec
	s_or_b64 exec, exec, s[50:51]
	s_and_b64 exec, exec, s[52:53]
	s_cbranch_execnz .LBB4_636
	s_branch .LBB4_637
.LBB4_631:                              ;   in Loop: Header=BB4_20 Depth=1
	s_andn2_saveexec_b64 s[50:51], s[50:51]
	s_cbranch_execz .LBB4_629
.LBB4_632:                              ;   in Loop: Header=BB4_20 Depth=1
	s_mov_b64 s[58:59], exec
	v_mbcnt_lo_u32_b32 v0, s58, 0
	v_mbcnt_hi_u32_b32 v0, s59, v0
	v_cmp_eq_u32_e32 vcc, 0, v0
                                        ; implicit-def: $vgpr1
	s_and_saveexec_b64 s[56:57], vcc
	s_cbranch_execz .LBB4_634
; %bb.633:                              ;   in Loop: Header=BB4_20 Depth=1
	s_bcnt1_i32_b64 s42, s[58:59]
	v_mov_b32_e32 v1, s42
	global_atomic_add v1, v29, v1, s[24:25] offset:384 glc
.LBB4_634:                              ;   in Loop: Header=BB4_20 Depth=1
	s_or_b64 exec, exec, s[56:57]
	s_andn2_b64 s[52:53], s[52:53], exec
	s_and_b64 s[56:57], s[44:45], exec
	s_waitcnt vmcnt(0)
	v_readfirstlane_b32 s42, v1
	s_or_b64 s[52:53], s[52:53], s[56:57]
	s_andn2_b64 s[54:55], s[54:55], exec
	s_and_b64 s[56:57], s[26:27], exec
	v_add_u32_e32 v0, s42, v0
	s_or_b64 s[54:55], s[54:55], s[56:57]
	v_mov_b32_e32 v2, v27
	s_or_b64 exec, exec, s[50:51]
	s_and_saveexec_b64 s[50:51], s[54:55]
	s_cbranch_execnz .LBB4_630
.LBB4_635:                              ;   in Loop: Header=BB4_20 Depth=1
	s_or_b64 exec, exec, s[50:51]
	s_and_b64 exec, exec, s[52:53]
	s_cbranch_execz .LBB4_637
.LBB4_636:                              ;   in Loop: Header=BB4_20 Depth=1
	v_ashrrev_i32_e32 v1, 31, v0
	v_lshlrev_b64 v[0:1], 2, v[0:1]
	v_mov_b32_e32 v3, s33
	v_add_co_u32_e32 v0, vcc, s21, v0
	v_addc_co_u32_e32 v1, vcc, v3, v1, vcc
	s_waitcnt vmcnt(0)
	global_store_dword v[0:1], v2, off
.LBB4_637:                              ;   in Loop: Header=BB4_20 Depth=1
	s_or_b64 exec, exec, s[6:7]
.LBB4_638:                              ;   in Loop: Header=BB4_20 Depth=1
	s_add_i32 s88, s88, 1
	s_add_u32 s48, s48, 0x1000
	s_addc_u32 s49, s49, 0
	v_add_co_u32_e32 v36, vcc, 0x1000, v36
	s_cmp_eq_u32 s88, 4
	v_addc_co_u32_e32 v37, vcc, 0, v37, vcc
	s_mov_b64 s[6:7], -1
	s_cselect_b64 s[50:51], -1, 0
	s_branch .LBB4_19
.LBB4_639:
	s_andn2_b64 vcc, exec, s[6:7]
	s_cbranch_vccz .LBB4_821
; %bb.640:
	v_mov_b32_e32 v28, 0
	ds_read_b32 v26, v28 offset:8576
	s_add_i32 s16, s89, 32
	s_and_saveexec_b64 s[6:7], s[4:5]
	s_cbranch_execz .LBB4_772
; %bb.641:
	v_cndmask_b32_e64 v0, 0, 1, s[26:27]
	s_lshl_b32 s17, -1, s16
	s_mov_b64 s[8:9], 0
	v_mov_b32_e32 v29, s66
	v_mov_b32_e32 v30, s37
	v_bfrev_b32_e32 v31, -2
	v_cmp_ne_u32_e64 s[4:5], 1, v0
	s_branch .LBB4_645
.LBB4_642:                              ;   in Loop: Header=BB4_645 Depth=1
	s_waitcnt vmcnt(0)
	v_add3_u32 v1, v4, s20, 3
.LBB4_643:                              ;   in Loop: Header=BB4_645 Depth=1
	v_add_u32_e32 v2, s14, v0
	v_ashrrev_i32_e32 v3, 31, v2
	v_lshlrev_b64 v[2:3], 2, v[2:3]
	v_mov_b32_e32 v0, s33
	v_add_co_u32_e32 v2, vcc, s21, v2
	v_addc_co_u32_e32 v3, vcc, v0, v3, vcc
	s_waitcnt vmcnt(0)
	global_store_dword v[2:3], v1, off
.LBB4_644:                              ;   in Loop: Header=BB4_645 Depth=1
	s_or_b64 exec, exec, s[10:11]
	v_add_u32_e32 v20, s61, v20
	v_ashrrev_i32_e32 v21, 31, v20
	v_mov_b32_e32 v0, s67
	v_add_co_u32_e32 v22, vcc, s68, v20
	v_addc_co_u32_e32 v23, vcc, v0, v21, vcc
	v_cmp_le_u64_e32 vcc, s[30:31], v[22:23]
	s_or_b64 s[8:9], vcc, s[8:9]
	s_andn2_b64 exec, exec, s[8:9]
	s_cbranch_execz .LBB4_771
.LBB4_645:                              ; =>This Inner Loop Header: Depth=1
	v_lshlrev_b64 v[0:1], 4, v[20:21]
	v_add_co_u32_e32 v4, vcc, s60, v0
	s_waitcnt vmcnt(0)
	v_addc_co_u32_e32 v5, vcc, v29, v1, vcc
	global_load_dwordx4 v[0:3], v[4:5], off
	v_add_co_u32_e32 v8, vcc, s36, v4
	v_addc_co_u32_e32 v9, vcc, v5, v30, vcc
	global_load_dwordx4 v[4:7], v[8:9], off
	v_lshl_add_u32 v10, v20, 2, s34
	s_waitcnt vmcnt(1)
	v_cmp_gt_i32_e32 vcc, 0, v0
	v_cndmask_b32_e64 v11, v31, 0, vcc
	v_xor_b32_e32 v0, v11, v0
	v_and_b32_e32 v0, s17, v0
	s_waitcnt lgkmcnt(0)
	v_cmp_le_u32_e32 vcc, v0, v26
	s_and_saveexec_b64 s[10:11], vcc
	s_cbranch_execz .LBB4_653
; %bb.646:                              ;   in Loop: Header=BB4_645 Depth=1
	s_mov_b64 s[14:15], exec
	v_mbcnt_lo_u32_b32 v0, s14, 0
	v_mbcnt_hi_u32_b32 v0, s15, v0
	v_cmp_eq_u32_e32 vcc, 0, v0
                                        ; implicit-def: $vgpr11
	s_and_saveexec_b64 s[12:13], vcc
	s_cbranch_execz .LBB4_648
; %bb.647:                              ;   in Loop: Header=BB4_645 Depth=1
	s_bcnt1_i32_b64 s14, s[14:15]
	v_mov_b32_e32 v11, s14
	global_atomic_add v11, v28, v11, s[24:25] offset:384 glc
.LBB4_648:                              ;   in Loop: Header=BB4_645 Depth=1
	s_or_b64 exec, exec, s[12:13]
	s_and_b64 vcc, exec, s[4:5]
	s_waitcnt vmcnt(0)
	v_readfirstlane_b32 s14, v11
	s_cbranch_vccnz .LBB4_650
; %bb.649:                              ;   in Loop: Header=BB4_645 Depth=1
	v_ashrrev_i32_e32 v11, 31, v10
	v_lshlrev_b64 v[24:25], 2, v[10:11]
	v_mov_b32_e32 v11, s23
	v_add_co_u32_e32 v24, vcc, s22, v24
	v_addc_co_u32_e32 v25, vcc, v11, v25, vcc
	global_load_dword v11, v[24:25], off
	s_cbranch_execz .LBB4_651
	s_branch .LBB4_652
.LBB4_650:                              ;   in Loop: Header=BB4_645 Depth=1
                                        ; implicit-def: $vgpr11
.LBB4_651:                              ;   in Loop: Header=BB4_645 Depth=1
	s_waitcnt vmcnt(0)
	v_add_u32_e32 v11, s20, v10
.LBB4_652:                              ;   in Loop: Header=BB4_645 Depth=1
	v_add_u32_e32 v24, s14, v0
	v_ashrrev_i32_e32 v25, 31, v24
	v_lshlrev_b64 v[24:25], 2, v[24:25]
	v_mov_b32_e32 v0, s33
	v_add_co_u32_e32 v24, vcc, s21, v24
	v_addc_co_u32_e32 v25, vcc, v0, v25, vcc
	s_waitcnt vmcnt(0)
	global_store_dword v[24:25], v11, off
.LBB4_653:                              ;   in Loop: Header=BB4_645 Depth=1
	s_or_b64 exec, exec, s[10:11]
	v_cmp_gt_i32_e32 vcc, 0, v1
	v_cndmask_b32_e64 v0, v31, 0, vcc
	v_xor_b32_e32 v0, v0, v1
	v_and_b32_e32 v0, s17, v0
	v_cmp_le_u32_e32 vcc, v0, v26
	s_and_saveexec_b64 s[10:11], vcc
	s_cbranch_execz .LBB4_661
; %bb.654:                              ;   in Loop: Header=BB4_645 Depth=1
	s_mov_b64 s[14:15], exec
	v_mbcnt_lo_u32_b32 v0, s14, 0
	v_mbcnt_hi_u32_b32 v0, s15, v0
	v_cmp_eq_u32_e32 vcc, 0, v0
                                        ; implicit-def: $vgpr1
	s_and_saveexec_b64 s[12:13], vcc
	s_cbranch_execz .LBB4_656
; %bb.655:                              ;   in Loop: Header=BB4_645 Depth=1
	s_bcnt1_i32_b64 s14, s[14:15]
	v_mov_b32_e32 v1, s14
	global_atomic_add v1, v28, v1, s[24:25] offset:384 glc
.LBB4_656:                              ;   in Loop: Header=BB4_645 Depth=1
	s_or_b64 exec, exec, s[12:13]
	s_and_b64 vcc, exec, s[4:5]
	s_waitcnt vmcnt(0)
	v_readfirstlane_b32 s14, v1
	s_cbranch_vccnz .LBB4_658
; %bb.657:                              ;   in Loop: Header=BB4_645 Depth=1
	v_ashrrev_i32_e32 v11, 31, v10
	v_lshlrev_b64 v[24:25], 2, v[10:11]
	v_mov_b32_e32 v1, s35
	v_add_co_u32_e32 v24, vcc, s29, v24
	v_addc_co_u32_e32 v25, vcc, v1, v25, vcc
	global_load_dword v1, v[24:25], off
	s_cbranch_execz .LBB4_659
	s_branch .LBB4_660
.LBB4_658:                              ;   in Loop: Header=BB4_645 Depth=1
                                        ; implicit-def: $vgpr1
.LBB4_659:                              ;   in Loop: Header=BB4_645 Depth=1
	s_waitcnt vmcnt(0)
	v_add3_u32 v1, v10, s20, 1
.LBB4_660:                              ;   in Loop: Header=BB4_645 Depth=1
	v_add_u32_e32 v24, s14, v0
	v_ashrrev_i32_e32 v25, 31, v24
	v_lshlrev_b64 v[24:25], 2, v[24:25]
	v_mov_b32_e32 v0, s33
	v_add_co_u32_e32 v24, vcc, s21, v24
	v_addc_co_u32_e32 v25, vcc, v0, v25, vcc
	s_waitcnt vmcnt(0)
	global_store_dword v[24:25], v1, off
.LBB4_661:                              ;   in Loop: Header=BB4_645 Depth=1
	s_or_b64 exec, exec, s[10:11]
	v_cmp_gt_i32_e32 vcc, 0, v2
	v_cndmask_b32_e64 v0, v31, 0, vcc
	v_xor_b32_e32 v0, v0, v2
	v_and_b32_e32 v0, s17, v0
	v_cmp_le_u32_e32 vcc, v0, v26
	s_and_saveexec_b64 s[10:11], vcc
	s_cbranch_execz .LBB4_669
; %bb.662:                              ;   in Loop: Header=BB4_645 Depth=1
	s_mov_b64 s[14:15], exec
	v_mbcnt_lo_u32_b32 v0, s14, 0
	v_mbcnt_hi_u32_b32 v0, s15, v0
	v_cmp_eq_u32_e32 vcc, 0, v0
                                        ; implicit-def: $vgpr1
	s_and_saveexec_b64 s[12:13], vcc
	s_cbranch_execz .LBB4_664
; %bb.663:                              ;   in Loop: Header=BB4_645 Depth=1
	s_bcnt1_i32_b64 s14, s[14:15]
	v_mov_b32_e32 v1, s14
	global_atomic_add v1, v28, v1, s[24:25] offset:384 glc
.LBB4_664:                              ;   in Loop: Header=BB4_645 Depth=1
	s_or_b64 exec, exec, s[12:13]
	s_and_b64 vcc, exec, s[4:5]
	s_waitcnt vmcnt(0)
	v_readfirstlane_b32 s14, v1
	s_cbranch_vccnz .LBB4_666
; %bb.665:                              ;   in Loop: Header=BB4_645 Depth=1
	v_ashrrev_i32_e32 v11, 31, v10
	v_lshlrev_b64 v[24:25], 2, v[10:11]
	v_mov_b32_e32 v1, s63
	v_add_co_u32_e32 v24, vcc, s62, v24
	v_addc_co_u32_e32 v25, vcc, v1, v25, vcc
	global_load_dword v1, v[24:25], off
	s_cbranch_execz .LBB4_667
	s_branch .LBB4_668
.LBB4_666:                              ;   in Loop: Header=BB4_645 Depth=1
                                        ; implicit-def: $vgpr1
.LBB4_667:                              ;   in Loop: Header=BB4_645 Depth=1
	s_waitcnt vmcnt(0)
	v_add3_u32 v1, v10, s20, 2
.LBB4_668:                              ;   in Loop: Header=BB4_645 Depth=1
	v_add_u32_e32 v24, s14, v0
	v_ashrrev_i32_e32 v25, 31, v24
	v_lshlrev_b64 v[24:25], 2, v[24:25]
	v_mov_b32_e32 v0, s33
	v_add_co_u32_e32 v24, vcc, s21, v24
	v_addc_co_u32_e32 v25, vcc, v0, v25, vcc
	s_waitcnt vmcnt(0)
	global_store_dword v[24:25], v1, off
.LBB4_669:                              ;   in Loop: Header=BB4_645 Depth=1
	;; [unrolled: 50-line block ×3, first 2 shown]
	s_or_b64 exec, exec, s[10:11]
	v_mov_b32_e32 v0, s37
	v_add_co_u32_e32 v24, vcc, s36, v8
	v_addc_co_u32_e32 v25, vcc, v9, v0, vcc
	v_lshlrev_b64 v[0:1], 4, v[22:23]
	v_mov_b32_e32 v2, s66
	v_add_co_u32_e32 v32, vcc, s60, v0
	v_addc_co_u32_e32 v33, vcc, v2, v1, vcc
	global_load_dwordx4 v[8:11], v[24:25], off
	global_load_dwordx4 v[0:3], v[32:33], off
	v_add_co_u32_e32 v21, vcc, s28, v20
	s_waitcnt vmcnt(2)
	v_cmp_gt_i32_e32 vcc, 0, v4
	v_cndmask_b32_e64 v23, v31, 0, vcc
	v_xor_b32_e32 v4, v23, v4
	v_and_b32_e32 v4, s17, v4
	v_lshl_add_u32 v24, v21, 2, s34
	v_cmp_le_u32_e32 vcc, v4, v26
	s_and_saveexec_b64 s[10:11], vcc
	s_cbranch_execz .LBB4_685
; %bb.678:                              ;   in Loop: Header=BB4_645 Depth=1
	s_mov_b64 s[14:15], exec
	v_mbcnt_lo_u32_b32 v4, s14, 0
	v_mbcnt_hi_u32_b32 v4, s15, v4
	v_cmp_eq_u32_e32 vcc, 0, v4
                                        ; implicit-def: $vgpr23
	s_and_saveexec_b64 s[12:13], vcc
	s_cbranch_execz .LBB4_680
; %bb.679:                              ;   in Loop: Header=BB4_645 Depth=1
	s_bcnt1_i32_b64 s14, s[14:15]
	v_mov_b32_e32 v23, s14
	global_atomic_add v23, v28, v23, s[24:25] offset:384 glc
.LBB4_680:                              ;   in Loop: Header=BB4_645 Depth=1
	s_or_b64 exec, exec, s[12:13]
	s_and_b64 vcc, exec, s[4:5]
	s_waitcnt vmcnt(0)
	v_readfirstlane_b32 s14, v23
	s_cbranch_vccnz .LBB4_682
; %bb.681:                              ;   in Loop: Header=BB4_645 Depth=1
	v_ashrrev_i32_e32 v25, 31, v24
	v_lshlrev_b64 v[32:33], 2, v[24:25]
	v_mov_b32_e32 v23, s23
	v_add_co_u32_e32 v32, vcc, s22, v32
	v_addc_co_u32_e32 v33, vcc, v23, v33, vcc
	global_load_dword v23, v[32:33], off
	s_cbranch_execz .LBB4_683
	s_branch .LBB4_684
.LBB4_682:                              ;   in Loop: Header=BB4_645 Depth=1
                                        ; implicit-def: $vgpr23
.LBB4_683:                              ;   in Loop: Header=BB4_645 Depth=1
	s_waitcnt vmcnt(0)
	v_add_u32_e32 v23, s20, v24
.LBB4_684:                              ;   in Loop: Header=BB4_645 Depth=1
	v_add_u32_e32 v32, s14, v4
	v_ashrrev_i32_e32 v33, 31, v32
	v_lshlrev_b64 v[32:33], 2, v[32:33]
	v_mov_b32_e32 v4, s33
	v_add_co_u32_e32 v32, vcc, s21, v32
	v_addc_co_u32_e32 v33, vcc, v4, v33, vcc
	s_waitcnt vmcnt(0)
	global_store_dword v[32:33], v23, off
.LBB4_685:                              ;   in Loop: Header=BB4_645 Depth=1
	s_or_b64 exec, exec, s[10:11]
	v_cmp_gt_i32_e32 vcc, 0, v5
	v_cndmask_b32_e64 v4, v31, 0, vcc
	v_xor_b32_e32 v4, v4, v5
	v_and_b32_e32 v4, s17, v4
	v_cmp_le_u32_e32 vcc, v4, v26
	s_and_saveexec_b64 s[10:11], vcc
	s_cbranch_execz .LBB4_693
; %bb.686:                              ;   in Loop: Header=BB4_645 Depth=1
	s_mov_b64 s[14:15], exec
	v_mbcnt_lo_u32_b32 v4, s14, 0
	v_mbcnt_hi_u32_b32 v4, s15, v4
	v_cmp_eq_u32_e32 vcc, 0, v4
                                        ; implicit-def: $vgpr5
	s_and_saveexec_b64 s[12:13], vcc
	s_cbranch_execz .LBB4_688
; %bb.687:                              ;   in Loop: Header=BB4_645 Depth=1
	s_bcnt1_i32_b64 s14, s[14:15]
	v_mov_b32_e32 v5, s14
	global_atomic_add v5, v28, v5, s[24:25] offset:384 glc
.LBB4_688:                              ;   in Loop: Header=BB4_645 Depth=1
	s_or_b64 exec, exec, s[12:13]
	s_and_b64 vcc, exec, s[4:5]
	s_waitcnt vmcnt(0)
	v_readfirstlane_b32 s14, v5
	s_cbranch_vccnz .LBB4_690
; %bb.689:                              ;   in Loop: Header=BB4_645 Depth=1
	v_ashrrev_i32_e32 v25, 31, v24
	v_lshlrev_b64 v[32:33], 2, v[24:25]
	v_mov_b32_e32 v5, s35
	v_add_co_u32_e32 v32, vcc, s29, v32
	v_addc_co_u32_e32 v33, vcc, v5, v33, vcc
	global_load_dword v5, v[32:33], off
	s_cbranch_execz .LBB4_691
	s_branch .LBB4_692
.LBB4_690:                              ;   in Loop: Header=BB4_645 Depth=1
                                        ; implicit-def: $vgpr5
.LBB4_691:                              ;   in Loop: Header=BB4_645 Depth=1
	s_waitcnt vmcnt(0)
	v_add3_u32 v5, v24, s20, 1
.LBB4_692:                              ;   in Loop: Header=BB4_645 Depth=1
	v_add_u32_e32 v32, s14, v4
	v_ashrrev_i32_e32 v33, 31, v32
	v_lshlrev_b64 v[32:33], 2, v[32:33]
	v_mov_b32_e32 v4, s33
	v_add_co_u32_e32 v32, vcc, s21, v32
	v_addc_co_u32_e32 v33, vcc, v4, v33, vcc
	s_waitcnt vmcnt(0)
	global_store_dword v[32:33], v5, off
.LBB4_693:                              ;   in Loop: Header=BB4_645 Depth=1
	s_or_b64 exec, exec, s[10:11]
	v_cmp_gt_i32_e32 vcc, 0, v6
	v_cndmask_b32_e64 v4, v31, 0, vcc
	v_xor_b32_e32 v4, v4, v6
	v_and_b32_e32 v4, s17, v4
	v_cmp_le_u32_e32 vcc, v4, v26
	s_and_saveexec_b64 s[10:11], vcc
	s_cbranch_execz .LBB4_701
; %bb.694:                              ;   in Loop: Header=BB4_645 Depth=1
	s_mov_b64 s[14:15], exec
	v_mbcnt_lo_u32_b32 v4, s14, 0
	v_mbcnt_hi_u32_b32 v4, s15, v4
	v_cmp_eq_u32_e32 vcc, 0, v4
                                        ; implicit-def: $vgpr5
	s_and_saveexec_b64 s[12:13], vcc
	s_cbranch_execz .LBB4_696
; %bb.695:                              ;   in Loop: Header=BB4_645 Depth=1
	s_bcnt1_i32_b64 s14, s[14:15]
	v_mov_b32_e32 v5, s14
	global_atomic_add v5, v28, v5, s[24:25] offset:384 glc
.LBB4_696:                              ;   in Loop: Header=BB4_645 Depth=1
	s_or_b64 exec, exec, s[12:13]
	s_and_b64 vcc, exec, s[4:5]
	s_waitcnt vmcnt(0)
	v_readfirstlane_b32 s14, v5
	s_cbranch_vccnz .LBB4_698
; %bb.697:                              ;   in Loop: Header=BB4_645 Depth=1
	v_ashrrev_i32_e32 v25, 31, v24
	v_lshlrev_b64 v[32:33], 2, v[24:25]
	v_mov_b32_e32 v5, s63
	v_add_co_u32_e32 v32, vcc, s62, v32
	v_addc_co_u32_e32 v33, vcc, v5, v33, vcc
	global_load_dword v5, v[32:33], off
	s_cbranch_execz .LBB4_699
	s_branch .LBB4_700
.LBB4_698:                              ;   in Loop: Header=BB4_645 Depth=1
                                        ; implicit-def: $vgpr5
.LBB4_699:                              ;   in Loop: Header=BB4_645 Depth=1
	s_waitcnt vmcnt(0)
	v_add3_u32 v5, v24, s20, 2
.LBB4_700:                              ;   in Loop: Header=BB4_645 Depth=1
	v_add_u32_e32 v32, s14, v4
	v_ashrrev_i32_e32 v33, 31, v32
	v_lshlrev_b64 v[32:33], 2, v[32:33]
	v_mov_b32_e32 v4, s33
	v_add_co_u32_e32 v32, vcc, s21, v32
	v_addc_co_u32_e32 v33, vcc, v4, v33, vcc
	s_waitcnt vmcnt(0)
	global_store_dword v[32:33], v5, off
.LBB4_701:                              ;   in Loop: Header=BB4_645 Depth=1
	;; [unrolled: 50-line block ×3, first 2 shown]
	s_or_b64 exec, exec, s[10:11]
	s_waitcnt vmcnt(1)
	v_cmp_gt_i32_e32 vcc, 0, v8
	v_cndmask_b32_e64 v5, v31, 0, vcc
	v_xor_b32_e32 v5, v5, v8
	v_add_u32_e32 v4, s28, v21
	v_and_b32_e32 v5, s17, v5
	v_lshl_add_u32 v4, v4, 2, s34
	v_cmp_le_u32_e32 vcc, v5, v26
	s_and_saveexec_b64 s[10:11], vcc
	s_cbranch_execz .LBB4_717
; %bb.710:                              ;   in Loop: Header=BB4_645 Depth=1
	s_mov_b64 s[14:15], exec
	v_mbcnt_lo_u32_b32 v5, s14, 0
	v_mbcnt_hi_u32_b32 v6, s15, v5
	v_cmp_eq_u32_e32 vcc, 0, v6
                                        ; implicit-def: $vgpr5
	s_and_saveexec_b64 s[12:13], vcc
	s_cbranch_execz .LBB4_712
; %bb.711:                              ;   in Loop: Header=BB4_645 Depth=1
	s_bcnt1_i32_b64 s14, s[14:15]
	v_mov_b32_e32 v5, s14
	global_atomic_add v5, v28, v5, s[24:25] offset:384 glc
.LBB4_712:                              ;   in Loop: Header=BB4_645 Depth=1
	s_or_b64 exec, exec, s[12:13]
	s_and_b64 vcc, exec, s[4:5]
	s_waitcnt vmcnt(0)
	v_readfirstlane_b32 s14, v5
	s_cbranch_vccnz .LBB4_714
; %bb.713:                              ;   in Loop: Header=BB4_645 Depth=1
	v_ashrrev_i32_e32 v5, 31, v4
	v_lshlrev_b64 v[24:25], 2, v[4:5]
	v_mov_b32_e32 v5, s23
	v_add_co_u32_e32 v24, vcc, s22, v24
	v_addc_co_u32_e32 v25, vcc, v5, v25, vcc
	global_load_dword v5, v[24:25], off
	s_cbranch_execz .LBB4_715
	s_branch .LBB4_716
.LBB4_714:                              ;   in Loop: Header=BB4_645 Depth=1
                                        ; implicit-def: $vgpr5
.LBB4_715:                              ;   in Loop: Header=BB4_645 Depth=1
	s_waitcnt vmcnt(0)
	v_add_u32_e32 v5, s20, v4
.LBB4_716:                              ;   in Loop: Header=BB4_645 Depth=1
	v_add_u32_e32 v6, s14, v6
	v_ashrrev_i32_e32 v7, 31, v6
	v_lshlrev_b64 v[6:7], 2, v[6:7]
	v_mov_b32_e32 v8, s33
	v_add_co_u32_e32 v6, vcc, s21, v6
	v_addc_co_u32_e32 v7, vcc, v8, v7, vcc
	s_waitcnt vmcnt(0)
	global_store_dword v[6:7], v5, off
.LBB4_717:                              ;   in Loop: Header=BB4_645 Depth=1
	s_or_b64 exec, exec, s[10:11]
	v_cmp_gt_i32_e32 vcc, 0, v9
	v_cndmask_b32_e64 v5, v31, 0, vcc
	v_xor_b32_e32 v5, v5, v9
	v_and_b32_e32 v5, s17, v5
	v_cmp_le_u32_e32 vcc, v5, v26
	s_and_saveexec_b64 s[10:11], vcc
	s_cbranch_execz .LBB4_725
; %bb.718:                              ;   in Loop: Header=BB4_645 Depth=1
	s_mov_b64 s[14:15], exec
	v_mbcnt_lo_u32_b32 v5, s14, 0
	v_mbcnt_hi_u32_b32 v6, s15, v5
	v_cmp_eq_u32_e32 vcc, 0, v6
                                        ; implicit-def: $vgpr5
	s_and_saveexec_b64 s[12:13], vcc
	s_cbranch_execz .LBB4_720
; %bb.719:                              ;   in Loop: Header=BB4_645 Depth=1
	s_bcnt1_i32_b64 s14, s[14:15]
	v_mov_b32_e32 v5, s14
	global_atomic_add v5, v28, v5, s[24:25] offset:384 glc
.LBB4_720:                              ;   in Loop: Header=BB4_645 Depth=1
	s_or_b64 exec, exec, s[12:13]
	s_and_b64 vcc, exec, s[4:5]
	s_waitcnt vmcnt(0)
	v_readfirstlane_b32 s14, v5
	s_cbranch_vccnz .LBB4_722
; %bb.721:                              ;   in Loop: Header=BB4_645 Depth=1
	v_ashrrev_i32_e32 v5, 31, v4
	v_lshlrev_b64 v[8:9], 2, v[4:5]
	v_mov_b32_e32 v5, s35
	v_add_co_u32_e32 v8, vcc, s29, v8
	v_addc_co_u32_e32 v9, vcc, v5, v9, vcc
	global_load_dword v5, v[8:9], off
	s_cbranch_execz .LBB4_723
	s_branch .LBB4_724
.LBB4_722:                              ;   in Loop: Header=BB4_645 Depth=1
                                        ; implicit-def: $vgpr5
.LBB4_723:                              ;   in Loop: Header=BB4_645 Depth=1
	s_waitcnt vmcnt(0)
	v_add3_u32 v5, v4, s20, 1
.LBB4_724:                              ;   in Loop: Header=BB4_645 Depth=1
	v_add_u32_e32 v6, s14, v6
	v_ashrrev_i32_e32 v7, 31, v6
	v_lshlrev_b64 v[6:7], 2, v[6:7]
	v_mov_b32_e32 v8, s33
	v_add_co_u32_e32 v6, vcc, s21, v6
	v_addc_co_u32_e32 v7, vcc, v8, v7, vcc
	s_waitcnt vmcnt(0)
	global_store_dword v[6:7], v5, off
.LBB4_725:                              ;   in Loop: Header=BB4_645 Depth=1
	s_or_b64 exec, exec, s[10:11]
	v_cmp_gt_i32_e32 vcc, 0, v10
	v_cndmask_b32_e64 v5, v31, 0, vcc
	v_xor_b32_e32 v5, v5, v10
	v_and_b32_e32 v5, s17, v5
	v_cmp_le_u32_e32 vcc, v5, v26
	s_and_saveexec_b64 s[10:11], vcc
	s_cbranch_execz .LBB4_733
; %bb.726:                              ;   in Loop: Header=BB4_645 Depth=1
	s_mov_b64 s[14:15], exec
	v_mbcnt_lo_u32_b32 v5, s14, 0
	v_mbcnt_hi_u32_b32 v6, s15, v5
	v_cmp_eq_u32_e32 vcc, 0, v6
                                        ; implicit-def: $vgpr5
	s_and_saveexec_b64 s[12:13], vcc
	s_cbranch_execz .LBB4_728
; %bb.727:                              ;   in Loop: Header=BB4_645 Depth=1
	s_bcnt1_i32_b64 s14, s[14:15]
	v_mov_b32_e32 v5, s14
	global_atomic_add v5, v28, v5, s[24:25] offset:384 glc
.LBB4_728:                              ;   in Loop: Header=BB4_645 Depth=1
	s_or_b64 exec, exec, s[12:13]
	s_and_b64 vcc, exec, s[4:5]
	s_waitcnt vmcnt(0)
	v_readfirstlane_b32 s14, v5
	s_cbranch_vccnz .LBB4_730
; %bb.729:                              ;   in Loop: Header=BB4_645 Depth=1
	v_ashrrev_i32_e32 v5, 31, v4
	v_lshlrev_b64 v[8:9], 2, v[4:5]
	v_mov_b32_e32 v5, s63
	v_add_co_u32_e32 v8, vcc, s62, v8
	v_addc_co_u32_e32 v9, vcc, v5, v9, vcc
	global_load_dword v5, v[8:9], off
	s_cbranch_execz .LBB4_731
	s_branch .LBB4_732
.LBB4_730:                              ;   in Loop: Header=BB4_645 Depth=1
                                        ; implicit-def: $vgpr5
.LBB4_731:                              ;   in Loop: Header=BB4_645 Depth=1
	s_waitcnt vmcnt(0)
	v_add3_u32 v5, v4, s20, 2
.LBB4_732:                              ;   in Loop: Header=BB4_645 Depth=1
	v_add_u32_e32 v6, s14, v6
	v_ashrrev_i32_e32 v7, 31, v6
	v_lshlrev_b64 v[6:7], 2, v[6:7]
	v_mov_b32_e32 v8, s33
	v_add_co_u32_e32 v6, vcc, s21, v6
	v_addc_co_u32_e32 v7, vcc, v8, v7, vcc
	s_waitcnt vmcnt(0)
	global_store_dword v[6:7], v5, off
.LBB4_733:                              ;   in Loop: Header=BB4_645 Depth=1
	;; [unrolled: 50-line block ×3, first 2 shown]
	s_or_b64 exec, exec, s[10:11]
	s_waitcnt vmcnt(0)
	v_cmp_gt_i32_e32 vcc, 0, v0
	v_cndmask_b32_e64 v5, v31, 0, vcc
	v_xor_b32_e32 v0, v5, v0
	v_and_b32_e32 v0, s17, v0
	v_lshl_add_u32 v4, v22, 2, s34
	v_cmp_le_u32_e32 vcc, v0, v26
	s_and_saveexec_b64 s[10:11], vcc
	s_cbranch_execz .LBB4_749
; %bb.742:                              ;   in Loop: Header=BB4_645 Depth=1
	s_mov_b64 s[14:15], exec
	v_mbcnt_lo_u32_b32 v0, s14, 0
	v_mbcnt_hi_u32_b32 v0, s15, v0
	v_cmp_eq_u32_e32 vcc, 0, v0
                                        ; implicit-def: $vgpr5
	s_and_saveexec_b64 s[12:13], vcc
	s_cbranch_execz .LBB4_744
; %bb.743:                              ;   in Loop: Header=BB4_645 Depth=1
	s_bcnt1_i32_b64 s14, s[14:15]
	v_mov_b32_e32 v5, s14
	global_atomic_add v5, v28, v5, s[24:25] offset:384 glc
.LBB4_744:                              ;   in Loop: Header=BB4_645 Depth=1
	s_or_b64 exec, exec, s[12:13]
	s_and_b64 vcc, exec, s[4:5]
	s_waitcnt vmcnt(0)
	v_readfirstlane_b32 s14, v5
	s_cbranch_vccnz .LBB4_746
; %bb.745:                              ;   in Loop: Header=BB4_645 Depth=1
	v_ashrrev_i32_e32 v5, 31, v4
	v_lshlrev_b64 v[6:7], 2, v[4:5]
	v_mov_b32_e32 v5, s23
	v_add_co_u32_e32 v6, vcc, s22, v6
	v_addc_co_u32_e32 v7, vcc, v5, v7, vcc
	global_load_dword v5, v[6:7], off
	s_cbranch_execz .LBB4_747
	s_branch .LBB4_748
.LBB4_746:                              ;   in Loop: Header=BB4_645 Depth=1
                                        ; implicit-def: $vgpr5
.LBB4_747:                              ;   in Loop: Header=BB4_645 Depth=1
	s_waitcnt vmcnt(0)
	v_add_u32_e32 v5, s20, v4
.LBB4_748:                              ;   in Loop: Header=BB4_645 Depth=1
	v_add_u32_e32 v6, s14, v0
	v_ashrrev_i32_e32 v7, 31, v6
	v_lshlrev_b64 v[6:7], 2, v[6:7]
	v_mov_b32_e32 v0, s33
	v_add_co_u32_e32 v6, vcc, s21, v6
	v_addc_co_u32_e32 v7, vcc, v0, v7, vcc
	s_waitcnt vmcnt(0)
	global_store_dword v[6:7], v5, off
.LBB4_749:                              ;   in Loop: Header=BB4_645 Depth=1
	s_or_b64 exec, exec, s[10:11]
	v_cmp_gt_i32_e32 vcc, 0, v1
	v_cndmask_b32_e64 v0, v31, 0, vcc
	v_xor_b32_e32 v0, v0, v1
	v_and_b32_e32 v0, s17, v0
	v_cmp_le_u32_e32 vcc, v0, v26
	s_and_saveexec_b64 s[10:11], vcc
	s_cbranch_execz .LBB4_757
; %bb.750:                              ;   in Loop: Header=BB4_645 Depth=1
	s_mov_b64 s[14:15], exec
	v_mbcnt_lo_u32_b32 v0, s14, 0
	v_mbcnt_hi_u32_b32 v0, s15, v0
	v_cmp_eq_u32_e32 vcc, 0, v0
                                        ; implicit-def: $vgpr1
	s_and_saveexec_b64 s[12:13], vcc
	s_cbranch_execz .LBB4_752
; %bb.751:                              ;   in Loop: Header=BB4_645 Depth=1
	s_bcnt1_i32_b64 s14, s[14:15]
	v_mov_b32_e32 v1, s14
	global_atomic_add v1, v28, v1, s[24:25] offset:384 glc
.LBB4_752:                              ;   in Loop: Header=BB4_645 Depth=1
	s_or_b64 exec, exec, s[12:13]
	s_and_b64 vcc, exec, s[4:5]
	s_waitcnt vmcnt(0)
	v_readfirstlane_b32 s14, v1
	s_cbranch_vccnz .LBB4_754
; %bb.753:                              ;   in Loop: Header=BB4_645 Depth=1
	v_ashrrev_i32_e32 v5, 31, v4
	v_lshlrev_b64 v[6:7], 2, v[4:5]
	v_mov_b32_e32 v1, s35
	v_add_co_u32_e32 v6, vcc, s29, v6
	v_addc_co_u32_e32 v7, vcc, v1, v7, vcc
	global_load_dword v1, v[6:7], off
	s_cbranch_execz .LBB4_755
	s_branch .LBB4_756
.LBB4_754:                              ;   in Loop: Header=BB4_645 Depth=1
                                        ; implicit-def: $vgpr1
.LBB4_755:                              ;   in Loop: Header=BB4_645 Depth=1
	s_waitcnt vmcnt(0)
	v_add3_u32 v1, v4, s20, 1
.LBB4_756:                              ;   in Loop: Header=BB4_645 Depth=1
	v_add_u32_e32 v6, s14, v0
	v_ashrrev_i32_e32 v7, 31, v6
	v_lshlrev_b64 v[6:7], 2, v[6:7]
	v_mov_b32_e32 v0, s33
	v_add_co_u32_e32 v6, vcc, s21, v6
	v_addc_co_u32_e32 v7, vcc, v0, v7, vcc
	s_waitcnt vmcnt(0)
	global_store_dword v[6:7], v1, off
.LBB4_757:                              ;   in Loop: Header=BB4_645 Depth=1
	s_or_b64 exec, exec, s[10:11]
	v_cmp_gt_i32_e32 vcc, 0, v2
	v_cndmask_b32_e64 v0, v31, 0, vcc
	v_xor_b32_e32 v0, v0, v2
	v_and_b32_e32 v0, s17, v0
	v_cmp_le_u32_e32 vcc, v0, v26
	s_and_saveexec_b64 s[10:11], vcc
	s_cbranch_execz .LBB4_765
; %bb.758:                              ;   in Loop: Header=BB4_645 Depth=1
	s_mov_b64 s[14:15], exec
	v_mbcnt_lo_u32_b32 v0, s14, 0
	v_mbcnt_hi_u32_b32 v0, s15, v0
	v_cmp_eq_u32_e32 vcc, 0, v0
                                        ; implicit-def: $vgpr1
	s_and_saveexec_b64 s[12:13], vcc
	s_cbranch_execz .LBB4_760
; %bb.759:                              ;   in Loop: Header=BB4_645 Depth=1
	s_bcnt1_i32_b64 s14, s[14:15]
	v_mov_b32_e32 v1, s14
	global_atomic_add v1, v28, v1, s[24:25] offset:384 glc
.LBB4_760:                              ;   in Loop: Header=BB4_645 Depth=1
	s_or_b64 exec, exec, s[12:13]
	s_and_b64 vcc, exec, s[4:5]
	s_waitcnt vmcnt(0)
	v_readfirstlane_b32 s14, v1
	s_cbranch_vccnz .LBB4_762
; %bb.761:                              ;   in Loop: Header=BB4_645 Depth=1
	v_ashrrev_i32_e32 v5, 31, v4
	v_lshlrev_b64 v[6:7], 2, v[4:5]
	v_mov_b32_e32 v1, s63
	v_add_co_u32_e32 v6, vcc, s62, v6
	v_addc_co_u32_e32 v7, vcc, v1, v7, vcc
	global_load_dword v1, v[6:7], off
	s_cbranch_execz .LBB4_763
	s_branch .LBB4_764
.LBB4_762:                              ;   in Loop: Header=BB4_645 Depth=1
                                        ; implicit-def: $vgpr1
.LBB4_763:                              ;   in Loop: Header=BB4_645 Depth=1
	s_waitcnt vmcnt(0)
	v_add3_u32 v1, v4, s20, 2
.LBB4_764:                              ;   in Loop: Header=BB4_645 Depth=1
	v_add_u32_e32 v6, s14, v0
	v_ashrrev_i32_e32 v7, 31, v6
	v_lshlrev_b64 v[6:7], 2, v[6:7]
	v_mov_b32_e32 v0, s33
	v_add_co_u32_e32 v6, vcc, s21, v6
	v_addc_co_u32_e32 v7, vcc, v0, v7, vcc
	s_waitcnt vmcnt(0)
	global_store_dword v[6:7], v1, off
.LBB4_765:                              ;   in Loop: Header=BB4_645 Depth=1
	s_or_b64 exec, exec, s[10:11]
	v_cmp_gt_i32_e32 vcc, 0, v3
	v_cndmask_b32_e64 v0, v31, 0, vcc
	v_xor_b32_e32 v0, v0, v3
	v_and_b32_e32 v0, s17, v0
	v_cmp_le_u32_e32 vcc, v0, v26
	s_and_saveexec_b64 s[10:11], vcc
	s_cbranch_execz .LBB4_644
; %bb.766:                              ;   in Loop: Header=BB4_645 Depth=1
	s_mov_b64 s[14:15], exec
	v_mbcnt_lo_u32_b32 v0, s14, 0
	v_mbcnt_hi_u32_b32 v0, s15, v0
	v_cmp_eq_u32_e32 vcc, 0, v0
                                        ; implicit-def: $vgpr1
	s_and_saveexec_b64 s[12:13], vcc
	s_cbranch_execz .LBB4_768
; %bb.767:                              ;   in Loop: Header=BB4_645 Depth=1
	s_bcnt1_i32_b64 s14, s[14:15]
	v_mov_b32_e32 v1, s14
	global_atomic_add v1, v28, v1, s[24:25] offset:384 glc
.LBB4_768:                              ;   in Loop: Header=BB4_645 Depth=1
	s_or_b64 exec, exec, s[12:13]
	s_and_b64 vcc, exec, s[4:5]
	s_waitcnt vmcnt(0)
	v_readfirstlane_b32 s14, v1
	s_cbranch_vccnz .LBB4_770
; %bb.769:                              ;   in Loop: Header=BB4_645 Depth=1
	v_ashrrev_i32_e32 v5, 31, v4
	v_lshlrev_b64 v[2:3], 2, v[4:5]
	v_mov_b32_e32 v1, s65
	v_add_co_u32_e32 v2, vcc, s64, v2
	v_addc_co_u32_e32 v3, vcc, v1, v3, vcc
	global_load_dword v1, v[2:3], off
	s_cbranch_execnz .LBB4_643
	s_branch .LBB4_642
.LBB4_770:                              ;   in Loop: Header=BB4_645 Depth=1
                                        ; implicit-def: $vgpr1
	s_branch .LBB4_642
.LBB4_771:
	s_or_b64 exec, exec, s[8:9]
	v_mov_b32_e32 v24, v20
.LBB4_772:
	s_or_b64 exec, exec, s[6:7]
	v_cmp_gt_i32_e32 vcc, s30, v24
	s_and_saveexec_b64 s[6:7], vcc
	s_cbranch_execz .LBB4_807
; %bb.773:
	v_cndmask_b32_e64 v0, 0, 1, s[26:27]
	s_lshl_b32 s17, -1, s16
	v_lshl_add_u32 v4, v24, 2, s34
	s_mov_b64 s[8:9], 0
	v_mov_b32_e32 v6, s66
	v_bfrev_b32_e32 v7, -2
	v_mov_b32_e32 v8, 0
	v_cmp_ne_u32_e64 s[4:5], 1, v0
	s_branch .LBB4_777
.LBB4_774:                              ;   in Loop: Header=BB4_777 Depth=1
	s_waitcnt vmcnt(0)
	v_add3_u32 v1, s20, v4, 3
.LBB4_775:                              ;   in Loop: Header=BB4_777 Depth=1
	v_add_u32_e32 v2, s14, v0
	v_ashrrev_i32_e32 v3, 31, v2
	v_lshlrev_b64 v[2:3], 2, v[2:3]
	v_mov_b32_e32 v0, s33
	v_add_co_u32_e32 v2, vcc, s21, v2
	v_addc_co_u32_e32 v3, vcc, v0, v3, vcc
	s_waitcnt vmcnt(0)
	global_store_dword v[2:3], v1, off
.LBB4_776:                              ;   in Loop: Header=BB4_777 Depth=1
	s_or_b64 exec, exec, s[10:11]
	v_add_u32_e32 v24, s28, v24
	v_cmp_le_i32_e32 vcc, s30, v24
	s_or_b64 s[8:9], vcc, s[8:9]
	v_add_u32_e32 v4, s61, v4
	s_andn2_b64 exec, exec, s[8:9]
	s_cbranch_execz .LBB4_807
.LBB4_777:                              ; =>This Inner Loop Header: Depth=1
	v_ashrrev_i32_e32 v25, 31, v24
	v_lshlrev_b64 v[0:1], 4, v[24:25]
	v_add_co_u32_e32 v0, vcc, s60, v0
	v_addc_co_u32_e32 v1, vcc, v6, v1, vcc
	global_load_dwordx4 v[0:3], v[0:1], off
	s_waitcnt vmcnt(0)
	v_cmp_gt_i32_e32 vcc, 0, v0
	v_cndmask_b32_e64 v5, v7, 0, vcc
	v_xor_b32_e32 v0, v5, v0
	v_and_b32_e32 v0, s17, v0
	s_waitcnt lgkmcnt(0)
	v_cmp_le_u32_e32 vcc, v0, v26
	s_and_saveexec_b64 s[10:11], vcc
	s_cbranch_execz .LBB4_785
; %bb.778:                              ;   in Loop: Header=BB4_777 Depth=1
	s_mov_b64 s[14:15], exec
	v_mbcnt_lo_u32_b32 v0, s14, 0
	v_mbcnt_hi_u32_b32 v0, s15, v0
	v_cmp_eq_u32_e32 vcc, 0, v0
                                        ; implicit-def: $vgpr5
	s_and_saveexec_b64 s[12:13], vcc
	s_cbranch_execz .LBB4_780
; %bb.779:                              ;   in Loop: Header=BB4_777 Depth=1
	s_bcnt1_i32_b64 s14, s[14:15]
	v_mov_b32_e32 v5, s14
	global_atomic_add v5, v8, v5, s[24:25] offset:384 glc
.LBB4_780:                              ;   in Loop: Header=BB4_777 Depth=1
	s_or_b64 exec, exec, s[12:13]
	s_and_b64 vcc, exec, s[4:5]
	s_waitcnt vmcnt(0)
	v_readfirstlane_b32 s14, v5
	s_cbranch_vccnz .LBB4_782
; %bb.781:                              ;   in Loop: Header=BB4_777 Depth=1
	v_ashrrev_i32_e32 v5, 31, v4
	v_lshlrev_b64 v[10:11], 2, v[4:5]
	v_mov_b32_e32 v5, s23
	v_add_co_u32_e32 v10, vcc, s22, v10
	v_addc_co_u32_e32 v11, vcc, v5, v11, vcc
	global_load_dword v5, v[10:11], off
	s_cbranch_execz .LBB4_783
	s_branch .LBB4_784
.LBB4_782:                              ;   in Loop: Header=BB4_777 Depth=1
                                        ; implicit-def: $vgpr5
.LBB4_783:                              ;   in Loop: Header=BB4_777 Depth=1
	s_waitcnt vmcnt(0)
	v_add_u32_e32 v5, s20, v4
.LBB4_784:                              ;   in Loop: Header=BB4_777 Depth=1
	v_add_u32_e32 v10, s14, v0
	v_ashrrev_i32_e32 v11, 31, v10
	v_lshlrev_b64 v[10:11], 2, v[10:11]
	v_mov_b32_e32 v0, s33
	v_add_co_u32_e32 v10, vcc, s21, v10
	v_addc_co_u32_e32 v11, vcc, v0, v11, vcc
	s_waitcnt vmcnt(0)
	global_store_dword v[10:11], v5, off
.LBB4_785:                              ;   in Loop: Header=BB4_777 Depth=1
	s_or_b64 exec, exec, s[10:11]
	v_cmp_gt_i32_e32 vcc, 0, v1
	v_cndmask_b32_e64 v0, v7, 0, vcc
	v_xor_b32_e32 v0, v0, v1
	v_and_b32_e32 v0, s17, v0
	v_cmp_le_u32_e32 vcc, v0, v26
	s_and_saveexec_b64 s[10:11], vcc
	s_cbranch_execz .LBB4_793
; %bb.786:                              ;   in Loop: Header=BB4_777 Depth=1
	s_mov_b64 s[14:15], exec
	v_mbcnt_lo_u32_b32 v0, s14, 0
	v_mbcnt_hi_u32_b32 v0, s15, v0
	v_cmp_eq_u32_e32 vcc, 0, v0
                                        ; implicit-def: $vgpr1
	s_and_saveexec_b64 s[12:13], vcc
	s_cbranch_execz .LBB4_788
; %bb.787:                              ;   in Loop: Header=BB4_777 Depth=1
	s_bcnt1_i32_b64 s14, s[14:15]
	v_mov_b32_e32 v1, s14
	global_atomic_add v1, v8, v1, s[24:25] offset:384 glc
.LBB4_788:                              ;   in Loop: Header=BB4_777 Depth=1
	s_or_b64 exec, exec, s[12:13]
	s_and_b64 vcc, exec, s[4:5]
	s_waitcnt vmcnt(0)
	v_readfirstlane_b32 s14, v1
	s_cbranch_vccnz .LBB4_790
; %bb.789:                              ;   in Loop: Header=BB4_777 Depth=1
	v_ashrrev_i32_e32 v5, 31, v4
	v_lshlrev_b64 v[10:11], 2, v[4:5]
	v_mov_b32_e32 v1, s35
	v_add_co_u32_e32 v10, vcc, s29, v10
	v_addc_co_u32_e32 v11, vcc, v1, v11, vcc
	global_load_dword v1, v[10:11], off
	s_cbranch_execz .LBB4_791
	s_branch .LBB4_792
.LBB4_790:                              ;   in Loop: Header=BB4_777 Depth=1
                                        ; implicit-def: $vgpr1
.LBB4_791:                              ;   in Loop: Header=BB4_777 Depth=1
	s_waitcnt vmcnt(0)
	v_add3_u32 v1, s20, v4, 1
.LBB4_792:                              ;   in Loop: Header=BB4_777 Depth=1
	v_add_u32_e32 v10, s14, v0
	v_ashrrev_i32_e32 v11, 31, v10
	v_lshlrev_b64 v[10:11], 2, v[10:11]
	v_mov_b32_e32 v0, s33
	v_add_co_u32_e32 v10, vcc, s21, v10
	v_addc_co_u32_e32 v11, vcc, v0, v11, vcc
	s_waitcnt vmcnt(0)
	global_store_dword v[10:11], v1, off
.LBB4_793:                              ;   in Loop: Header=BB4_777 Depth=1
	s_or_b64 exec, exec, s[10:11]
	v_cmp_gt_i32_e32 vcc, 0, v2
	v_cndmask_b32_e64 v0, v7, 0, vcc
	v_xor_b32_e32 v0, v0, v2
	v_and_b32_e32 v0, s17, v0
	v_cmp_le_u32_e32 vcc, v0, v26
	s_and_saveexec_b64 s[10:11], vcc
	s_cbranch_execz .LBB4_801
; %bb.794:                              ;   in Loop: Header=BB4_777 Depth=1
	s_mov_b64 s[14:15], exec
	v_mbcnt_lo_u32_b32 v0, s14, 0
	v_mbcnt_hi_u32_b32 v0, s15, v0
	v_cmp_eq_u32_e32 vcc, 0, v0
                                        ; implicit-def: $vgpr1
	s_and_saveexec_b64 s[12:13], vcc
	s_cbranch_execz .LBB4_796
; %bb.795:                              ;   in Loop: Header=BB4_777 Depth=1
	s_bcnt1_i32_b64 s14, s[14:15]
	v_mov_b32_e32 v1, s14
	global_atomic_add v1, v8, v1, s[24:25] offset:384 glc
.LBB4_796:                              ;   in Loop: Header=BB4_777 Depth=1
	s_or_b64 exec, exec, s[12:13]
	s_and_b64 vcc, exec, s[4:5]
	s_waitcnt vmcnt(0)
	v_readfirstlane_b32 s14, v1
	s_cbranch_vccnz .LBB4_798
; %bb.797:                              ;   in Loop: Header=BB4_777 Depth=1
	v_ashrrev_i32_e32 v5, 31, v4
	v_lshlrev_b64 v[10:11], 2, v[4:5]
	v_mov_b32_e32 v1, s63
	v_add_co_u32_e32 v10, vcc, s62, v10
	v_addc_co_u32_e32 v11, vcc, v1, v11, vcc
	global_load_dword v1, v[10:11], off
	s_cbranch_execz .LBB4_799
	s_branch .LBB4_800
.LBB4_798:                              ;   in Loop: Header=BB4_777 Depth=1
                                        ; implicit-def: $vgpr1
.LBB4_799:                              ;   in Loop: Header=BB4_777 Depth=1
	s_waitcnt vmcnt(0)
	v_add3_u32 v1, s20, v4, 2
.LBB4_800:                              ;   in Loop: Header=BB4_777 Depth=1
	v_add_u32_e32 v10, s14, v0
	v_ashrrev_i32_e32 v11, 31, v10
	v_lshlrev_b64 v[10:11], 2, v[10:11]
	v_mov_b32_e32 v0, s33
	v_add_co_u32_e32 v10, vcc, s21, v10
	v_addc_co_u32_e32 v11, vcc, v0, v11, vcc
	s_waitcnt vmcnt(0)
	global_store_dword v[10:11], v1, off
.LBB4_801:                              ;   in Loop: Header=BB4_777 Depth=1
	s_or_b64 exec, exec, s[10:11]
	v_cmp_gt_i32_e32 vcc, 0, v3
	v_cndmask_b32_e64 v0, v7, 0, vcc
	v_xor_b32_e32 v0, v0, v3
	v_and_b32_e32 v0, s17, v0
	v_cmp_le_u32_e32 vcc, v0, v26
	s_and_saveexec_b64 s[10:11], vcc
	s_cbranch_execz .LBB4_776
; %bb.802:                              ;   in Loop: Header=BB4_777 Depth=1
	s_mov_b64 s[14:15], exec
	v_mbcnt_lo_u32_b32 v0, s14, 0
	v_mbcnt_hi_u32_b32 v0, s15, v0
	v_cmp_eq_u32_e32 vcc, 0, v0
                                        ; implicit-def: $vgpr1
	s_and_saveexec_b64 s[12:13], vcc
	s_cbranch_execz .LBB4_804
; %bb.803:                              ;   in Loop: Header=BB4_777 Depth=1
	s_bcnt1_i32_b64 s14, s[14:15]
	v_mov_b32_e32 v1, s14
	global_atomic_add v1, v8, v1, s[24:25] offset:384 glc
.LBB4_804:                              ;   in Loop: Header=BB4_777 Depth=1
	s_or_b64 exec, exec, s[12:13]
	s_and_b64 vcc, exec, s[4:5]
	s_waitcnt vmcnt(0)
	v_readfirstlane_b32 s14, v1
	s_cbranch_vccnz .LBB4_806
; %bb.805:                              ;   in Loop: Header=BB4_777 Depth=1
	v_ashrrev_i32_e32 v5, 31, v4
	v_lshlrev_b64 v[2:3], 2, v[4:5]
	v_mov_b32_e32 v1, s65
	v_add_co_u32_e32 v2, vcc, s64, v2
	v_addc_co_u32_e32 v3, vcc, v1, v3, vcc
	global_load_dword v1, v[2:3], off
	s_cbranch_execnz .LBB4_775
	s_branch .LBB4_774
.LBB4_806:                              ;   in Loop: Header=BB4_777 Depth=1
                                        ; implicit-def: $vgpr1
	s_branch .LBB4_774
.LBB4_807:
	s_or_b64 exec, exec, s[6:7]
	s_and_saveexec_b64 s[4:5], s[2:3]
	s_cbranch_execz .LBB4_814
; %bb.808:
	global_load_dword v0, v[16:17], off
	v_bfrev_b32_e32 v1, -2
	s_lshl_b32 s2, -1, s16
	s_waitcnt vmcnt(0)
	v_cmp_gt_i32_e32 vcc, 0, v0
	v_cndmask_b32_e64 v1, v1, 0, vcc
	v_xor_b32_e32 v0, v1, v0
	v_and_b32_e32 v0, s2, v0
	s_waitcnt lgkmcnt(0)
	v_cmp_le_u32_e32 vcc, v0, v26
	s_and_b64 exec, exec, vcc
	s_cbranch_execz .LBB4_814
; %bb.809:
	s_mov_b64 s[6:7], exec
	v_mbcnt_lo_u32_b32 v0, s6, 0
	v_mbcnt_hi_u32_b32 v0, s7, v0
	v_cmp_eq_u32_e32 vcc, 0, v0
                                        ; implicit-def: $vgpr1
	s_and_saveexec_b64 s[2:3], vcc
	s_cbranch_execz .LBB4_811
; %bb.810:
	s_bcnt1_i32_b64 s6, s[6:7]
	v_mov_b32_e32 v1, 0
	v_mov_b32_e32 v2, s6
	global_atomic_add v1, v1, v2, s[24:25] offset:384 glc
.LBB4_811:
	s_or_b64 exec, exec, s[2:3]
	s_andn2_b64 vcc, exec, s[26:27]
	s_waitcnt vmcnt(0)
	v_readfirstlane_b32 s2, v1
	s_cbranch_vccnz .LBB4_813
; %bb.812:
	global_load_dword v48, v[18:19], off
.LBB4_813:
	v_add_u32_e32 v0, s2, v0
	v_ashrrev_i32_e32 v1, 31, v0
	v_lshlrev_b64 v[0:1], 2, v[0:1]
	v_mov_b32_e32 v2, s33
	v_add_co_u32_e32 v0, vcc, s21, v0
	v_addc_co_u32_e32 v1, vcc, v2, v1, vcc
	s_waitcnt vmcnt(0)
	global_store_dword v[0:1], v48, off
.LBB4_814:
	s_or_b64 exec, exec, s[4:5]
	s_and_saveexec_b64 s[2:3], s[0:1]
	s_cbranch_execz .LBB4_821
; %bb.815:
	global_load_dword v0, v[14:15], off
	v_bfrev_b32_e32 v1, -2
	s_lshl_b32 s0, -1, s16
	s_waitcnt vmcnt(0)
	v_cmp_gt_i32_e32 vcc, 0, v0
	v_cndmask_b32_e64 v1, v1, 0, vcc
	v_xor_b32_e32 v0, v1, v0
	v_and_b32_e32 v0, s0, v0
	s_waitcnt lgkmcnt(0)
	v_cmp_le_u32_e32 vcc, v0, v26
	s_and_b64 exec, exec, vcc
	s_cbranch_execz .LBB4_821
; %bb.816:
	s_mov_b64 s[2:3], exec
	v_mbcnt_lo_u32_b32 v0, s2, 0
	v_mbcnt_hi_u32_b32 v0, s3, v0
	v_cmp_eq_u32_e32 vcc, 0, v0
                                        ; implicit-def: $vgpr1
	s_and_saveexec_b64 s[0:1], vcc
	s_cbranch_execz .LBB4_818
; %bb.817:
	s_bcnt1_i32_b64 s2, s[2:3]
	v_mov_b32_e32 v1, 0
	v_mov_b32_e32 v2, s2
	global_atomic_add v1, v1, v2, s[24:25] offset:384 glc
.LBB4_818:
	s_or_b64 exec, exec, s[0:1]
	s_andn2_b64 vcc, exec, s[26:27]
	s_waitcnt vmcnt(0)
	v_readfirstlane_b32 s0, v1
	s_cbranch_vccnz .LBB4_820
; %bb.819:
	global_load_dword v27, v[12:13], off
.LBB4_820:
	v_add_u32_e32 v0, s0, v0
	v_ashrrev_i32_e32 v1, 31, v0
	v_lshlrev_b64 v[0:1], 2, v[0:1]
	v_mov_b32_e32 v2, s33
	v_add_co_u32_e32 v0, vcc, s21, v0
	v_addc_co_u32_e32 v1, vcc, v2, v1, vcc
	s_waitcnt vmcnt(0)
	global_store_dword v[0:1], v27, off
.LBB4_821:
	s_endpgm
	.section	.rodata,"a",@progbits
	.p2align	6, 0x0
	.amdhsa_kernel _ZN5aiter2mb23radix_kernel_persistentIfiLi10ELi1024ELb0ELb0ELNS0_5PhaseE0EEEvPKT_PKT0_PS3_PS6_PNS0_7CounterIS3_S6_EESA_S6_S8_S8_S6_S6_b
		.amdhsa_group_segment_fixed_size 8592
		.amdhsa_private_segment_fixed_size 0
		.amdhsa_kernarg_size 344
		.amdhsa_user_sgpr_count 6
		.amdhsa_user_sgpr_private_segment_buffer 1
		.amdhsa_user_sgpr_dispatch_ptr 0
		.amdhsa_user_sgpr_queue_ptr 0
		.amdhsa_user_sgpr_kernarg_segment_ptr 1
		.amdhsa_user_sgpr_dispatch_id 0
		.amdhsa_user_sgpr_flat_scratch_init 0
		.amdhsa_user_sgpr_kernarg_preload_length 0
		.amdhsa_user_sgpr_kernarg_preload_offset 0
		.amdhsa_user_sgpr_private_segment_size 0
		.amdhsa_uses_dynamic_stack 0
		.amdhsa_system_sgpr_private_segment_wavefront_offset 0
		.amdhsa_system_sgpr_workgroup_id_x 1
		.amdhsa_system_sgpr_workgroup_id_y 1
		.amdhsa_system_sgpr_workgroup_id_z 0
		.amdhsa_system_sgpr_workgroup_info 0
		.amdhsa_system_vgpr_workitem_id 2
		.amdhsa_next_free_vgpr 64
		.amdhsa_next_free_sgpr 90
		.amdhsa_accum_offset 64
		.amdhsa_reserve_vcc 1
		.amdhsa_reserve_flat_scratch 0
		.amdhsa_float_round_mode_32 0
		.amdhsa_float_round_mode_16_64 0
		.amdhsa_float_denorm_mode_32 3
		.amdhsa_float_denorm_mode_16_64 3
		.amdhsa_dx10_clamp 1
		.amdhsa_ieee_mode 1
		.amdhsa_fp16_overflow 0
		.amdhsa_tg_split 0
		.amdhsa_exception_fp_ieee_invalid_op 0
		.amdhsa_exception_fp_denorm_src 0
		.amdhsa_exception_fp_ieee_div_zero 0
		.amdhsa_exception_fp_ieee_overflow 0
		.amdhsa_exception_fp_ieee_underflow 0
		.amdhsa_exception_fp_ieee_inexact 0
		.amdhsa_exception_int_div_zero 0
	.end_amdhsa_kernel
	.section	.text._ZN5aiter2mb23radix_kernel_persistentIfiLi10ELi1024ELb0ELb0ELNS0_5PhaseE0EEEvPKT_PKT0_PS3_PS6_PNS0_7CounterIS3_S6_EESA_S6_S8_S8_S6_S6_b,"axG",@progbits,_ZN5aiter2mb23radix_kernel_persistentIfiLi10ELi1024ELb0ELb0ELNS0_5PhaseE0EEEvPKT_PKT0_PS3_PS6_PNS0_7CounterIS3_S6_EESA_S6_S8_S8_S6_S6_b,comdat
.Lfunc_end4:
	.size	_ZN5aiter2mb23radix_kernel_persistentIfiLi10ELi1024ELb0ELb0ELNS0_5PhaseE0EEEvPKT_PKT0_PS3_PS6_PNS0_7CounterIS3_S6_EESA_S6_S8_S8_S6_S6_b, .Lfunc_end4-_ZN5aiter2mb23radix_kernel_persistentIfiLi10ELi1024ELb0ELb0ELNS0_5PhaseE0EEEvPKT_PKT0_PS3_PS6_PNS0_7CounterIS3_S6_EESA_S6_S8_S8_S6_S6_b
                                        ; -- End function
	.section	.AMDGPU.csdata,"",@progbits
; Kernel info:
; codeLenInByte = 21556
; NumSgprs: 94
; NumVgprs: 64
; NumAgprs: 0
; TotalNumVgprs: 64
; ScratchSize: 0
; MemoryBound: 0
; FloatMode: 240
; IeeeMode: 1
; LDSByteSize: 8592 bytes/workgroup (compile time only)
; SGPRBlocks: 11
; VGPRBlocks: 7
; NumSGPRsForWavesPerEU: 94
; NumVGPRsForWavesPerEU: 64
; AccumOffset: 64
; Occupancy: 8
; WaveLimiterHint : 0
; COMPUTE_PGM_RSRC2:SCRATCH_EN: 0
; COMPUTE_PGM_RSRC2:USER_SGPR: 6
; COMPUTE_PGM_RSRC2:TRAP_HANDLER: 0
; COMPUTE_PGM_RSRC2:TGID_X_EN: 1
; COMPUTE_PGM_RSRC2:TGID_Y_EN: 1
; COMPUTE_PGM_RSRC2:TGID_Z_EN: 0
; COMPUTE_PGM_RSRC2:TIDIG_COMP_CNT: 2
; COMPUTE_PGM_RSRC3_GFX90A:ACCUM_OFFSET: 15
; COMPUTE_PGM_RSRC3_GFX90A:TG_SPLIT: 0
	.text
	.p2align	2                               ; -- Begin function _ZN5aiter2ob11last_filterIfiLi12ELb1ELb0EEEvPKT_PKT0_PS2_PS5_S5_S5_PNS0_7CounterIS2_S5_EEbib
	.type	_ZN5aiter2ob11last_filterIfiLi12ELb1ELb0EEEvPKT_PKT0_PS2_PS5_S5_S5_PNS0_7CounterIS2_S5_EEbib,@function
_ZN5aiter2ob11last_filterIfiLi12ELb1ELb0EEEvPKT_PKT0_PS2_PS5_S5_S5_PNS0_7CounterIS2_S5_EEbib: ; @_ZN5aiter2ob11last_filterIfiLi12ELb1ELb0EEEvPKT_PKT0_PS2_PS5_S5_S5_PNS0_7CounterIS2_S5_EEbib
; %bb.0:
	s_waitcnt vmcnt(0) expcnt(0) lgkmcnt(0)
	v_accvgpr_write_b32 a0, v40             ;  Reload Reuse
	v_accvgpr_write_b32 a1, v41             ;  Reload Reuse
	;; [unrolled: 1-line block ×8, first 2 shown]
	v_mov_b32_e32 v12, 0
	ds_read2_b32 v[22:23], v12 offset1:3
	v_mad_u64_u32 v[10:11], s[4:5], v10, -12, 20
	v_max_i32_e32 v11, 0, v10
	v_cmp_ne_u64_e32 vcc, 0, v[2:3]
	s_and_saveexec_b64 s[4:5], vcc
	s_xor_b64 s[4:5], exec, s[4:5]
	s_cbranch_execz .LBB5_135
; %bb.1:
	s_load_dword s6, s[8:9], 0x0
	v_and_b32_e32 v10, 0x3ff, v31
	s_waitcnt lgkmcnt(0)
	s_cmp_lt_u32 s12, s6
	s_cselect_b32 s6, 12, 18
	s_add_u32 s6, s8, s6
	s_addc_u32 s7, s9, 0
	global_load_ushort v12, v12, s[6:7]
	s_waitcnt vmcnt(0)
	v_mul_lo_u32 v20, v12, 7
	v_readfirstlane_b32 s13, v12
	v_add_u32_e32 v12, v10, v20
	v_cmp_lt_i32_e32 vcc, v12, v8
	s_and_saveexec_b64 s[6:7], vcc
	s_cbranch_execz .LBB5_117
; %bb.2:
	v_lshlrev_b32_e32 v14, 2, v10
	v_add_co_u32_e32 v12, vcc, v0, v14
	v_addc_co_u32_e32 v13, vcc, 0, v1, vcc
	s_mov_b32 s14, 0
	v_add_co_u32_e32 v14, vcc, v2, v14
	s_lshl_b32 s22, s13, 3
	v_lshlrev_b32_e64 v21, v11, -1
	s_lshl_b32 s23, s13, 1
	s_mul_i32 s24, s13, 3
	s_lshl_b32 s25, s13, 2
	s_mul_i32 s26, s13, 5
	s_mul_i32 s27, s13, 6
	s_lshl_b32 s28, s13, 5
	s_mov_b32 s29, s14
	v_addc_co_u32_e32 v15, vcc, 0, v3, vcc
	s_mov_b64 s[10:11], 0
	v_mov_b32_e32 v24, s14
	v_bfrev_b32_e32 v25, -2
	v_mov_b32_e32 v17, 0
	s_branch .LBB5_4
.LBB5_3:                                ;   in Loop: Header=BB5_4 Depth=1
	s_or_b64 exec, exec, s[14:15]
	v_add_u32_e32 v10, s22, v10
	v_mov_b32_e32 v18, s29
	v_add_co_u32_e32 v12, vcc, s28, v12
	v_add_u32_e32 v16, v20, v10
	v_addc_co_u32_e32 v13, vcc, v13, v18, vcc
	v_cmp_ge_i32_e32 vcc, v16, v8
	s_or_b64 s[10:11], vcc, s[10:11]
	v_add_co_u32_e32 v14, vcc, s28, v14
	v_addc_co_u32_e32 v15, vcc, v15, v18, vcc
	s_andn2_b64 exec, exec, s[10:11]
	s_cbranch_execz .LBB5_116
.LBB5_4:                                ; =>This Inner Loop Header: Depth=1
	v_add_co_u32_e32 v26, vcc, s25, v12
	v_add_u32_e32 v16, s23, v10
	v_addc_co_u32_e32 v27, vcc, v13, v24, vcc
	v_lshlrev_b64 v[50:51], 2, v[16:17]
	flat_load_dword v39, v[12:13]
	flat_load_dword v37, v[26:27]
	v_add_co_u32_e32 v26, vcc, v0, v50
	v_add_u32_e32 v16, s24, v10
	v_addc_co_u32_e32 v27, vcc, v1, v51, vcc
	v_lshlrev_b64 v[52:53], 2, v[16:17]
	v_add_co_u32_e32 v28, vcc, v0, v52
	v_add_u32_e32 v16, s25, v10
	v_addc_co_u32_e32 v29, vcc, v1, v53, vcc
	v_lshlrev_b64 v[54:55], 2, v[16:17]
	v_add_co_u32_e32 v30, vcc, v0, v54
	v_add_u32_e32 v16, s26, v10
	v_addc_co_u32_e32 v31, vcc, v1, v55, vcc
	v_lshlrev_b64 v[40:41], 2, v[16:17]
	v_add_co_u32_e32 v48, vcc, v0, v40
	v_add_u32_e32 v16, s27, v10
	v_addc_co_u32_e32 v49, vcc, v1, v41, vcc
	v_lshlrev_b64 v[42:43], 2, v[16:17]
	v_add_u32_e32 v18, v20, v10
	v_add_co_u32_e32 v44, vcc, v0, v42
	v_mov_b32_e32 v19, v17
	v_addc_co_u32_e32 v45, vcc, v1, v43, vcc
	v_lshlrev_b64 v[18:19], 2, v[18:19]
	v_add_co_u32_e32 v46, vcc, v0, v18
	v_addc_co_u32_e32 v47, vcc, v1, v19, vcc
	flat_load_dword v35, v[26:27]
	flat_load_dword v33, v[28:29]
	s_nop 0
	flat_load_dword v31, v[30:31]
	s_nop 0
	flat_load_dword v29, v[48:49]
	flat_load_dword v27, v[44:45]
	;; [unrolled: 1-line block ×3, first 2 shown]
	s_nop 0
	flat_load_dword v48, v[14:15]
	v_add_co_u32_e32 v44, vcc, s25, v14
	v_addc_co_u32_e32 v45, vcc, v15, v24, vcc
	v_add_co_u32_e32 v50, vcc, v2, v50
	v_addc_co_u32_e32 v51, vcc, v3, v51, vcc
	;; [unrolled: 2-line block ×6, first 2 shown]
	v_add_co_u32_e32 v18, vcc, v2, v18
	flat_load_dword v38, v[44:45]
	v_addc_co_u32_e32 v19, vcc, v3, v19, vcc
	flat_load_dword v36, v[50:51]
	flat_load_dword v34, v[52:53]
	;; [unrolled: 1-line block ×6, first 2 shown]
	s_mov_b64 s[16:17], 0
	s_waitcnt vmcnt(0) lgkmcnt(0)
	v_cmp_gt_i32_e32 vcc, 0, v39
	v_cndmask_b32_e64 v18, v25, 0, vcc
	v_xor_b32_e32 v18, v18, v39
	v_and_b32_e32 v19, v18, v21
	v_cmp_ge_u32_e32 vcc, v19, v23
                                        ; implicit-def: $vgpr18
	s_and_saveexec_b64 s[14:15], vcc
	s_xor_b64 s[14:15], exec, s[14:15]
	s_cbranch_execnz .LBB5_35
; %bb.5:                                ;   in Loop: Header=BB5_4 Depth=1
	s_andn2_saveexec_b64 s[14:15], s[14:15]
	s_cbranch_execnz .LBB5_42
.LBB5_6:                                ;   in Loop: Header=BB5_4 Depth=1
	s_or_b64 exec, exec, s[14:15]
	s_and_saveexec_b64 s[14:15], s[16:17]
	s_cbranch_execz .LBB5_8
.LBB5_7:                                ;   in Loop: Header=BB5_4 Depth=1
	v_ashrrev_i32_e32 v19, 31, v18
	v_lshlrev_b64 v[18:19], 2, v[18:19]
	v_add_co_u32_e32 v50, vcc, v4, v18
	v_addc_co_u32_e32 v51, vcc, v5, v19, vcc
	v_add_co_u32_e32 v18, vcc, v6, v18
	v_addc_co_u32_e32 v19, vcc, v7, v19, vcc
	flat_store_dword v[50:51], v39
	flat_store_dword v[18:19], v48
.LBB5_8:                                ;   in Loop: Header=BB5_4 Depth=1
	s_or_b64 exec, exec, s[14:15]
	v_cmp_gt_i32_e32 vcc, 0, v37
	v_cndmask_b32_e64 v18, v25, 0, vcc
	v_xor_b32_e32 v18, v18, v37
	v_and_b32_e32 v19, v18, v21
	v_cmp_ge_u32_e32 vcc, v19, v23
	s_mov_b64 s[16:17], 0
                                        ; implicit-def: $vgpr18
	s_and_saveexec_b64 s[14:15], vcc
	s_xor_b64 s[14:15], exec, s[14:15]
	s_cbranch_execnz .LBB5_45
; %bb.9:                                ;   in Loop: Header=BB5_4 Depth=1
	s_andn2_saveexec_b64 s[14:15], s[14:15]
	s_cbranch_execnz .LBB5_52
.LBB5_10:                               ;   in Loop: Header=BB5_4 Depth=1
	s_or_b64 exec, exec, s[14:15]
	s_and_saveexec_b64 s[14:15], s[16:17]
	s_cbranch_execz .LBB5_12
.LBB5_11:                               ;   in Loop: Header=BB5_4 Depth=1
	v_ashrrev_i32_e32 v19, 31, v18
	v_lshlrev_b64 v[18:19], 2, v[18:19]
	v_add_co_u32_e32 v48, vcc, v4, v18
	v_addc_co_u32_e32 v49, vcc, v5, v19, vcc
	v_add_co_u32_e32 v18, vcc, v6, v18
	v_addc_co_u32_e32 v19, vcc, v7, v19, vcc
	flat_store_dword v[48:49], v37
	flat_store_dword v[18:19], v38
.LBB5_12:                               ;   in Loop: Header=BB5_4 Depth=1
	s_or_b64 exec, exec, s[14:15]
	v_cmp_gt_i32_e32 vcc, 0, v35
	v_cndmask_b32_e64 v18, v25, 0, vcc
	v_xor_b32_e32 v18, v18, v35
	v_and_b32_e32 v19, v18, v21
	v_cmp_ge_u32_e32 vcc, v19, v23
	s_mov_b64 s[16:17], 0
                                        ; implicit-def: $vgpr18
	s_and_saveexec_b64 s[14:15], vcc
	s_xor_b64 s[14:15], exec, s[14:15]
	s_cbranch_execnz .LBB5_55
; %bb.13:                               ;   in Loop: Header=BB5_4 Depth=1
	s_andn2_saveexec_b64 s[14:15], s[14:15]
	s_cbranch_execnz .LBB5_62
.LBB5_14:                               ;   in Loop: Header=BB5_4 Depth=1
	s_or_b64 exec, exec, s[14:15]
	s_and_saveexec_b64 s[14:15], s[16:17]
	s_cbranch_execz .LBB5_16
.LBB5_15:                               ;   in Loop: Header=BB5_4 Depth=1
	v_ashrrev_i32_e32 v19, 31, v18
	v_lshlrev_b64 v[18:19], 2, v[18:19]
	v_add_co_u32_e32 v38, vcc, v4, v18
	v_addc_co_u32_e32 v39, vcc, v5, v19, vcc
	v_add_co_u32_e32 v18, vcc, v6, v18
	v_addc_co_u32_e32 v19, vcc, v7, v19, vcc
	flat_store_dword v[38:39], v35
	flat_store_dword v[18:19], v36
.LBB5_16:                               ;   in Loop: Header=BB5_4 Depth=1
	s_or_b64 exec, exec, s[14:15]
	v_cmp_gt_i32_e32 vcc, 0, v33
	v_cndmask_b32_e64 v18, v25, 0, vcc
	v_xor_b32_e32 v18, v18, v33
	v_and_b32_e32 v19, v18, v21
	v_cmp_ge_u32_e32 vcc, v19, v23
	s_mov_b64 s[16:17], 0
                                        ; implicit-def: $vgpr18
	s_and_saveexec_b64 s[14:15], vcc
	s_xor_b64 s[14:15], exec, s[14:15]
	s_cbranch_execnz .LBB5_65
; %bb.17:                               ;   in Loop: Header=BB5_4 Depth=1
	s_andn2_saveexec_b64 s[14:15], s[14:15]
	s_cbranch_execnz .LBB5_72
.LBB5_18:                               ;   in Loop: Header=BB5_4 Depth=1
	s_or_b64 exec, exec, s[14:15]
	s_and_saveexec_b64 s[14:15], s[16:17]
	s_cbranch_execz .LBB5_20
.LBB5_19:                               ;   in Loop: Header=BB5_4 Depth=1
	v_ashrrev_i32_e32 v19, 31, v18
	v_lshlrev_b64 v[18:19], 2, v[18:19]
	v_add_co_u32_e32 v36, vcc, v4, v18
	v_addc_co_u32_e32 v37, vcc, v5, v19, vcc
	v_add_co_u32_e32 v18, vcc, v6, v18
	v_addc_co_u32_e32 v19, vcc, v7, v19, vcc
	flat_store_dword v[36:37], v33
	flat_store_dword v[18:19], v34
.LBB5_20:                               ;   in Loop: Header=BB5_4 Depth=1
	s_or_b64 exec, exec, s[14:15]
	v_cmp_gt_i32_e32 vcc, 0, v31
	v_cndmask_b32_e64 v18, v25, 0, vcc
	v_xor_b32_e32 v18, v18, v31
	v_and_b32_e32 v19, v18, v21
	v_cmp_ge_u32_e32 vcc, v19, v23
	s_mov_b64 s[16:17], 0
                                        ; implicit-def: $vgpr18
	s_and_saveexec_b64 s[14:15], vcc
	s_xor_b64 s[14:15], exec, s[14:15]
	s_cbranch_execnz .LBB5_75
; %bb.21:                               ;   in Loop: Header=BB5_4 Depth=1
	s_andn2_saveexec_b64 s[14:15], s[14:15]
	s_cbranch_execnz .LBB5_82
.LBB5_22:                               ;   in Loop: Header=BB5_4 Depth=1
	s_or_b64 exec, exec, s[14:15]
	s_and_saveexec_b64 s[14:15], s[16:17]
	s_cbranch_execz .LBB5_24
.LBB5_23:                               ;   in Loop: Header=BB5_4 Depth=1
	v_ashrrev_i32_e32 v19, 31, v18
	v_lshlrev_b64 v[18:19], 2, v[18:19]
	v_add_co_u32_e32 v34, vcc, v4, v18
	v_addc_co_u32_e32 v35, vcc, v5, v19, vcc
	v_add_co_u32_e32 v18, vcc, v6, v18
	v_addc_co_u32_e32 v19, vcc, v7, v19, vcc
	flat_store_dword v[34:35], v31
	flat_store_dword v[18:19], v32
.LBB5_24:                               ;   in Loop: Header=BB5_4 Depth=1
	s_or_b64 exec, exec, s[14:15]
	v_cmp_gt_i32_e32 vcc, 0, v29
	v_cndmask_b32_e64 v18, v25, 0, vcc
	v_xor_b32_e32 v18, v18, v29
	v_and_b32_e32 v19, v18, v21
	v_cmp_ge_u32_e32 vcc, v19, v23
	s_mov_b64 s[16:17], 0
                                        ; implicit-def: $vgpr18
	s_and_saveexec_b64 s[14:15], vcc
	s_xor_b64 s[14:15], exec, s[14:15]
	s_cbranch_execnz .LBB5_85
; %bb.25:                               ;   in Loop: Header=BB5_4 Depth=1
	s_andn2_saveexec_b64 s[14:15], s[14:15]
	s_cbranch_execnz .LBB5_92
.LBB5_26:                               ;   in Loop: Header=BB5_4 Depth=1
	s_or_b64 exec, exec, s[14:15]
	s_and_saveexec_b64 s[14:15], s[16:17]
	s_cbranch_execz .LBB5_28
.LBB5_27:                               ;   in Loop: Header=BB5_4 Depth=1
	v_ashrrev_i32_e32 v19, 31, v18
	v_lshlrev_b64 v[18:19], 2, v[18:19]
	v_add_co_u32_e32 v32, vcc, v4, v18
	v_addc_co_u32_e32 v33, vcc, v5, v19, vcc
	v_add_co_u32_e32 v18, vcc, v6, v18
	v_addc_co_u32_e32 v19, vcc, v7, v19, vcc
	flat_store_dword v[32:33], v29
	flat_store_dword v[18:19], v30
.LBB5_28:                               ;   in Loop: Header=BB5_4 Depth=1
	s_or_b64 exec, exec, s[14:15]
	v_cmp_gt_i32_e32 vcc, 0, v27
	v_cndmask_b32_e64 v18, v25, 0, vcc
	v_xor_b32_e32 v18, v18, v27
	v_and_b32_e32 v19, v18, v21
	v_cmp_ge_u32_e32 vcc, v19, v23
	s_mov_b64 s[16:17], 0
                                        ; implicit-def: $vgpr18
	s_and_saveexec_b64 s[14:15], vcc
	s_xor_b64 s[14:15], exec, s[14:15]
	s_cbranch_execnz .LBB5_95
; %bb.29:                               ;   in Loop: Header=BB5_4 Depth=1
	s_andn2_saveexec_b64 s[14:15], s[14:15]
	s_cbranch_execnz .LBB5_102
.LBB5_30:                               ;   in Loop: Header=BB5_4 Depth=1
	s_or_b64 exec, exec, s[14:15]
	s_and_saveexec_b64 s[14:15], s[16:17]
	s_cbranch_execz .LBB5_32
.LBB5_31:                               ;   in Loop: Header=BB5_4 Depth=1
	v_ashrrev_i32_e32 v19, 31, v18
	v_lshlrev_b64 v[18:19], 2, v[18:19]
	v_add_co_u32_e32 v30, vcc, v4, v18
	v_addc_co_u32_e32 v31, vcc, v5, v19, vcc
	v_add_co_u32_e32 v18, vcc, v6, v18
	v_addc_co_u32_e32 v19, vcc, v7, v19, vcc
	flat_store_dword v[30:31], v27
	flat_store_dword v[18:19], v28
.LBB5_32:                               ;   in Loop: Header=BB5_4 Depth=1
	s_or_b64 exec, exec, s[14:15]
	v_cmp_gt_i32_e32 vcc, 0, v16
	v_cndmask_b32_e64 v18, v25, 0, vcc
	v_xor_b32_e32 v18, v18, v16
	v_and_b32_e32 v19, v18, v21
	v_cmp_ge_u32_e32 vcc, v19, v23
	s_mov_b64 s[16:17], 0
                                        ; implicit-def: $vgpr18
	s_and_saveexec_b64 s[14:15], vcc
	s_xor_b64 s[14:15], exec, s[14:15]
	s_cbranch_execnz .LBB5_105
; %bb.33:                               ;   in Loop: Header=BB5_4 Depth=1
	s_andn2_saveexec_b64 s[14:15], s[14:15]
	s_cbranch_execnz .LBB5_112
.LBB5_34:                               ;   in Loop: Header=BB5_4 Depth=1
	s_or_b64 exec, exec, s[14:15]
	s_and_saveexec_b64 s[14:15], s[16:17]
	s_cbranch_execz .LBB5_3
	s_branch .LBB5_115
.LBB5_35:                               ;   in Loop: Header=BB5_4 Depth=1
	v_cmp_eq_u32_e32 vcc, v19, v23
	s_mov_b64 s[18:19], 0
                                        ; implicit-def: $vgpr18
	s_and_saveexec_b64 s[16:17], vcc
	s_cbranch_execz .LBB5_41
; %bb.36:                               ;   in Loop: Header=BB5_4 Depth=1
	s_mov_b64 s[20:21], exec
	v_mbcnt_lo_u32_b32 v18, s20, 0
	v_mbcnt_hi_u32_b32 v18, s21, v18
	v_cmp_eq_u32_e32 vcc, 0, v18
                                        ; implicit-def: $vgpr19
	s_and_saveexec_b64 s[18:19], vcc
	s_cbranch_execz .LBB5_38
; %bb.37:                               ;   in Loop: Header=BB5_4 Depth=1
	s_bcnt1_i32_b64 s20, s[20:21]
	v_mov_b32_e32 v19, s20
	ds_add_rtn_u32 v19, v17, v19 offset:512
.LBB5_38:                               ;   in Loop: Header=BB5_4 Depth=1
	s_or_b64 exec, exec, s[18:19]
	s_waitcnt lgkmcnt(0)
	v_readfirstlane_b32 s18, v19
	v_add_u32_e32 v19, s18, v18
	v_cmp_lt_i32_e32 vcc, v19, v22
	s_mov_b64 s[18:19], 0
                                        ; implicit-def: $vgpr18
	s_and_saveexec_b64 s[20:21], vcc
	s_xor_b64 s[20:21], exec, s[20:21]
; %bb.39:                               ;   in Loop: Header=BB5_4 Depth=1
	s_mov_b64 s[18:19], exec
	v_xad_u32 v18, v19, -1, v9
; %bb.40:                               ;   in Loop: Header=BB5_4 Depth=1
	s_or_b64 exec, exec, s[20:21]
	s_and_b64 s[18:19], s[18:19], exec
.LBB5_41:                               ;   in Loop: Header=BB5_4 Depth=1
	s_or_b64 exec, exec, s[16:17]
	s_and_b64 s[16:17], s[18:19], exec
	s_andn2_saveexec_b64 s[14:15], s[14:15]
	s_cbranch_execz .LBB5_6
.LBB5_42:                               ;   in Loop: Header=BB5_4 Depth=1
	s_mov_b64 s[20:21], exec
	v_mbcnt_lo_u32_b32 v18, s20, 0
	v_mbcnt_hi_u32_b32 v18, s21, v18
	v_cmp_eq_u32_e32 vcc, 0, v18
                                        ; implicit-def: $vgpr19
	s_and_saveexec_b64 s[18:19], vcc
	s_cbranch_execz .LBB5_44
; %bb.43:                               ;   in Loop: Header=BB5_4 Depth=1
	s_bcnt1_i32_b64 s20, s[20:21]
	v_mov_b32_e32 v19, s20
	ds_add_rtn_u32 v19, v17, v19 offset:384
.LBB5_44:                               ;   in Loop: Header=BB5_4 Depth=1
	s_or_b64 exec, exec, s[18:19]
	s_waitcnt lgkmcnt(0)
	v_readfirstlane_b32 s18, v19
	v_add_u32_e32 v18, s18, v18
	s_or_b64 s[16:17], s[16:17], exec
	s_or_b64 exec, exec, s[14:15]
	s_and_saveexec_b64 s[14:15], s[16:17]
	s_cbranch_execnz .LBB5_7
	s_branch .LBB5_8
.LBB5_45:                               ;   in Loop: Header=BB5_4 Depth=1
	v_cmp_eq_u32_e32 vcc, v19, v23
	s_mov_b64 s[18:19], 0
                                        ; implicit-def: $vgpr18
	s_and_saveexec_b64 s[16:17], vcc
	s_cbranch_execz .LBB5_51
; %bb.46:                               ;   in Loop: Header=BB5_4 Depth=1
	s_mov_b64 s[20:21], exec
	v_mbcnt_lo_u32_b32 v18, s20, 0
	v_mbcnt_hi_u32_b32 v18, s21, v18
	v_cmp_eq_u32_e32 vcc, 0, v18
                                        ; implicit-def: $vgpr19
	s_and_saveexec_b64 s[18:19], vcc
	s_cbranch_execz .LBB5_48
; %bb.47:                               ;   in Loop: Header=BB5_4 Depth=1
	s_bcnt1_i32_b64 s20, s[20:21]
	v_mov_b32_e32 v19, s20
	ds_add_rtn_u32 v19, v17, v19 offset:512
.LBB5_48:                               ;   in Loop: Header=BB5_4 Depth=1
	s_or_b64 exec, exec, s[18:19]
	s_waitcnt lgkmcnt(0)
	v_readfirstlane_b32 s18, v19
	v_add_u32_e32 v19, s18, v18
	v_cmp_lt_i32_e32 vcc, v19, v22
	s_mov_b64 s[18:19], 0
                                        ; implicit-def: $vgpr18
	s_and_saveexec_b64 s[20:21], vcc
	s_xor_b64 s[20:21], exec, s[20:21]
; %bb.49:                               ;   in Loop: Header=BB5_4 Depth=1
	s_mov_b64 s[18:19], exec
	v_xad_u32 v18, v19, -1, v9
; %bb.50:                               ;   in Loop: Header=BB5_4 Depth=1
	s_or_b64 exec, exec, s[20:21]
	s_and_b64 s[18:19], s[18:19], exec
.LBB5_51:                               ;   in Loop: Header=BB5_4 Depth=1
	s_or_b64 exec, exec, s[16:17]
	s_and_b64 s[16:17], s[18:19], exec
	s_andn2_saveexec_b64 s[14:15], s[14:15]
	s_cbranch_execz .LBB5_10
.LBB5_52:                               ;   in Loop: Header=BB5_4 Depth=1
	s_mov_b64 s[20:21], exec
	v_mbcnt_lo_u32_b32 v18, s20, 0
	v_mbcnt_hi_u32_b32 v18, s21, v18
	v_cmp_eq_u32_e32 vcc, 0, v18
                                        ; implicit-def: $vgpr19
	s_and_saveexec_b64 s[18:19], vcc
	s_cbranch_execz .LBB5_54
; %bb.53:                               ;   in Loop: Header=BB5_4 Depth=1
	s_bcnt1_i32_b64 s20, s[20:21]
	v_mov_b32_e32 v19, s20
	ds_add_rtn_u32 v19, v17, v19 offset:384
.LBB5_54:                               ;   in Loop: Header=BB5_4 Depth=1
	s_or_b64 exec, exec, s[18:19]
	s_waitcnt lgkmcnt(0)
	v_readfirstlane_b32 s18, v19
	v_add_u32_e32 v18, s18, v18
	s_or_b64 s[16:17], s[16:17], exec
	s_or_b64 exec, exec, s[14:15]
	s_and_saveexec_b64 s[14:15], s[16:17]
	s_cbranch_execnz .LBB5_11
	s_branch .LBB5_12
.LBB5_55:                               ;   in Loop: Header=BB5_4 Depth=1
	v_cmp_eq_u32_e32 vcc, v19, v23
	s_mov_b64 s[18:19], 0
                                        ; implicit-def: $vgpr18
	s_and_saveexec_b64 s[16:17], vcc
	s_cbranch_execz .LBB5_61
; %bb.56:                               ;   in Loop: Header=BB5_4 Depth=1
	s_mov_b64 s[20:21], exec
	v_mbcnt_lo_u32_b32 v18, s20, 0
	v_mbcnt_hi_u32_b32 v18, s21, v18
	v_cmp_eq_u32_e32 vcc, 0, v18
                                        ; implicit-def: $vgpr19
	s_and_saveexec_b64 s[18:19], vcc
	s_cbranch_execz .LBB5_58
; %bb.57:                               ;   in Loop: Header=BB5_4 Depth=1
	s_bcnt1_i32_b64 s20, s[20:21]
	v_mov_b32_e32 v19, s20
	ds_add_rtn_u32 v19, v17, v19 offset:512
.LBB5_58:                               ;   in Loop: Header=BB5_4 Depth=1
	s_or_b64 exec, exec, s[18:19]
	s_waitcnt lgkmcnt(0)
	v_readfirstlane_b32 s18, v19
	v_add_u32_e32 v19, s18, v18
	v_cmp_lt_i32_e32 vcc, v19, v22
	s_mov_b64 s[18:19], 0
                                        ; implicit-def: $vgpr18
	s_and_saveexec_b64 s[20:21], vcc
	s_xor_b64 s[20:21], exec, s[20:21]
; %bb.59:                               ;   in Loop: Header=BB5_4 Depth=1
	s_mov_b64 s[18:19], exec
	v_xad_u32 v18, v19, -1, v9
; %bb.60:                               ;   in Loop: Header=BB5_4 Depth=1
	s_or_b64 exec, exec, s[20:21]
	s_and_b64 s[18:19], s[18:19], exec
.LBB5_61:                               ;   in Loop: Header=BB5_4 Depth=1
	s_or_b64 exec, exec, s[16:17]
	s_and_b64 s[16:17], s[18:19], exec
	s_andn2_saveexec_b64 s[14:15], s[14:15]
	s_cbranch_execz .LBB5_14
.LBB5_62:                               ;   in Loop: Header=BB5_4 Depth=1
	s_mov_b64 s[20:21], exec
	v_mbcnt_lo_u32_b32 v18, s20, 0
	v_mbcnt_hi_u32_b32 v18, s21, v18
	v_cmp_eq_u32_e32 vcc, 0, v18
                                        ; implicit-def: $vgpr19
	s_and_saveexec_b64 s[18:19], vcc
	s_cbranch_execz .LBB5_64
; %bb.63:                               ;   in Loop: Header=BB5_4 Depth=1
	s_bcnt1_i32_b64 s20, s[20:21]
	v_mov_b32_e32 v19, s20
	ds_add_rtn_u32 v19, v17, v19 offset:384
.LBB5_64:                               ;   in Loop: Header=BB5_4 Depth=1
	s_or_b64 exec, exec, s[18:19]
	s_waitcnt lgkmcnt(0)
	v_readfirstlane_b32 s18, v19
	v_add_u32_e32 v18, s18, v18
	s_or_b64 s[16:17], s[16:17], exec
	s_or_b64 exec, exec, s[14:15]
	s_and_saveexec_b64 s[14:15], s[16:17]
	s_cbranch_execnz .LBB5_15
	s_branch .LBB5_16
.LBB5_65:                               ;   in Loop: Header=BB5_4 Depth=1
	v_cmp_eq_u32_e32 vcc, v19, v23
	s_mov_b64 s[18:19], 0
                                        ; implicit-def: $vgpr18
	s_and_saveexec_b64 s[16:17], vcc
	s_cbranch_execz .LBB5_71
; %bb.66:                               ;   in Loop: Header=BB5_4 Depth=1
	s_mov_b64 s[20:21], exec
	v_mbcnt_lo_u32_b32 v18, s20, 0
	v_mbcnt_hi_u32_b32 v18, s21, v18
	v_cmp_eq_u32_e32 vcc, 0, v18
                                        ; implicit-def: $vgpr19
	s_and_saveexec_b64 s[18:19], vcc
	s_cbranch_execz .LBB5_68
; %bb.67:                               ;   in Loop: Header=BB5_4 Depth=1
	s_bcnt1_i32_b64 s20, s[20:21]
	v_mov_b32_e32 v19, s20
	ds_add_rtn_u32 v19, v17, v19 offset:512
.LBB5_68:                               ;   in Loop: Header=BB5_4 Depth=1
	s_or_b64 exec, exec, s[18:19]
	s_waitcnt lgkmcnt(0)
	v_readfirstlane_b32 s18, v19
	v_add_u32_e32 v19, s18, v18
	v_cmp_lt_i32_e32 vcc, v19, v22
	s_mov_b64 s[18:19], 0
                                        ; implicit-def: $vgpr18
	s_and_saveexec_b64 s[20:21], vcc
	s_xor_b64 s[20:21], exec, s[20:21]
; %bb.69:                               ;   in Loop: Header=BB5_4 Depth=1
	s_mov_b64 s[18:19], exec
	v_xad_u32 v18, v19, -1, v9
; %bb.70:                               ;   in Loop: Header=BB5_4 Depth=1
	s_or_b64 exec, exec, s[20:21]
	s_and_b64 s[18:19], s[18:19], exec
.LBB5_71:                               ;   in Loop: Header=BB5_4 Depth=1
	s_or_b64 exec, exec, s[16:17]
	s_and_b64 s[16:17], s[18:19], exec
	s_andn2_saveexec_b64 s[14:15], s[14:15]
	s_cbranch_execz .LBB5_18
.LBB5_72:                               ;   in Loop: Header=BB5_4 Depth=1
	s_mov_b64 s[20:21], exec
	v_mbcnt_lo_u32_b32 v18, s20, 0
	v_mbcnt_hi_u32_b32 v18, s21, v18
	v_cmp_eq_u32_e32 vcc, 0, v18
                                        ; implicit-def: $vgpr19
	s_and_saveexec_b64 s[18:19], vcc
	s_cbranch_execz .LBB5_74
; %bb.73:                               ;   in Loop: Header=BB5_4 Depth=1
	s_bcnt1_i32_b64 s20, s[20:21]
	v_mov_b32_e32 v19, s20
	ds_add_rtn_u32 v19, v17, v19 offset:384
.LBB5_74:                               ;   in Loop: Header=BB5_4 Depth=1
	s_or_b64 exec, exec, s[18:19]
	s_waitcnt lgkmcnt(0)
	v_readfirstlane_b32 s18, v19
	v_add_u32_e32 v18, s18, v18
	s_or_b64 s[16:17], s[16:17], exec
	s_or_b64 exec, exec, s[14:15]
	s_and_saveexec_b64 s[14:15], s[16:17]
	s_cbranch_execnz .LBB5_19
	s_branch .LBB5_20
.LBB5_75:                               ;   in Loop: Header=BB5_4 Depth=1
	v_cmp_eq_u32_e32 vcc, v19, v23
	s_mov_b64 s[18:19], 0
                                        ; implicit-def: $vgpr18
	s_and_saveexec_b64 s[16:17], vcc
	s_cbranch_execz .LBB5_81
; %bb.76:                               ;   in Loop: Header=BB5_4 Depth=1
	s_mov_b64 s[20:21], exec
	v_mbcnt_lo_u32_b32 v18, s20, 0
	v_mbcnt_hi_u32_b32 v18, s21, v18
	v_cmp_eq_u32_e32 vcc, 0, v18
                                        ; implicit-def: $vgpr19
	s_and_saveexec_b64 s[18:19], vcc
	s_cbranch_execz .LBB5_78
; %bb.77:                               ;   in Loop: Header=BB5_4 Depth=1
	s_bcnt1_i32_b64 s20, s[20:21]
	v_mov_b32_e32 v19, s20
	ds_add_rtn_u32 v19, v17, v19 offset:512
.LBB5_78:                               ;   in Loop: Header=BB5_4 Depth=1
	s_or_b64 exec, exec, s[18:19]
	s_waitcnt lgkmcnt(0)
	v_readfirstlane_b32 s18, v19
	v_add_u32_e32 v19, s18, v18
	v_cmp_lt_i32_e32 vcc, v19, v22
	s_mov_b64 s[18:19], 0
                                        ; implicit-def: $vgpr18
	s_and_saveexec_b64 s[20:21], vcc
	s_xor_b64 s[20:21], exec, s[20:21]
; %bb.79:                               ;   in Loop: Header=BB5_4 Depth=1
	s_mov_b64 s[18:19], exec
	v_xad_u32 v18, v19, -1, v9
; %bb.80:                               ;   in Loop: Header=BB5_4 Depth=1
	s_or_b64 exec, exec, s[20:21]
	s_and_b64 s[18:19], s[18:19], exec
.LBB5_81:                               ;   in Loop: Header=BB5_4 Depth=1
	s_or_b64 exec, exec, s[16:17]
	s_and_b64 s[16:17], s[18:19], exec
	s_andn2_saveexec_b64 s[14:15], s[14:15]
	s_cbranch_execz .LBB5_22
.LBB5_82:                               ;   in Loop: Header=BB5_4 Depth=1
	s_mov_b64 s[20:21], exec
	v_mbcnt_lo_u32_b32 v18, s20, 0
	v_mbcnt_hi_u32_b32 v18, s21, v18
	v_cmp_eq_u32_e32 vcc, 0, v18
                                        ; implicit-def: $vgpr19
	s_and_saveexec_b64 s[18:19], vcc
	s_cbranch_execz .LBB5_84
; %bb.83:                               ;   in Loop: Header=BB5_4 Depth=1
	s_bcnt1_i32_b64 s20, s[20:21]
	v_mov_b32_e32 v19, s20
	ds_add_rtn_u32 v19, v17, v19 offset:384
.LBB5_84:                               ;   in Loop: Header=BB5_4 Depth=1
	s_or_b64 exec, exec, s[18:19]
	s_waitcnt lgkmcnt(0)
	v_readfirstlane_b32 s18, v19
	v_add_u32_e32 v18, s18, v18
	s_or_b64 s[16:17], s[16:17], exec
	s_or_b64 exec, exec, s[14:15]
	s_and_saveexec_b64 s[14:15], s[16:17]
	s_cbranch_execnz .LBB5_23
	s_branch .LBB5_24
.LBB5_85:                               ;   in Loop: Header=BB5_4 Depth=1
	v_cmp_eq_u32_e32 vcc, v19, v23
	s_mov_b64 s[18:19], 0
                                        ; implicit-def: $vgpr18
	s_and_saveexec_b64 s[16:17], vcc
	s_cbranch_execz .LBB5_91
; %bb.86:                               ;   in Loop: Header=BB5_4 Depth=1
	s_mov_b64 s[20:21], exec
	v_mbcnt_lo_u32_b32 v18, s20, 0
	v_mbcnt_hi_u32_b32 v18, s21, v18
	v_cmp_eq_u32_e32 vcc, 0, v18
                                        ; implicit-def: $vgpr19
	s_and_saveexec_b64 s[18:19], vcc
	s_cbranch_execz .LBB5_88
; %bb.87:                               ;   in Loop: Header=BB5_4 Depth=1
	s_bcnt1_i32_b64 s20, s[20:21]
	v_mov_b32_e32 v19, s20
	ds_add_rtn_u32 v19, v17, v19 offset:512
.LBB5_88:                               ;   in Loop: Header=BB5_4 Depth=1
	s_or_b64 exec, exec, s[18:19]
	s_waitcnt lgkmcnt(0)
	v_readfirstlane_b32 s18, v19
	v_add_u32_e32 v19, s18, v18
	v_cmp_lt_i32_e32 vcc, v19, v22
	s_mov_b64 s[18:19], 0
                                        ; implicit-def: $vgpr18
	s_and_saveexec_b64 s[20:21], vcc
	s_xor_b64 s[20:21], exec, s[20:21]
; %bb.89:                               ;   in Loop: Header=BB5_4 Depth=1
	s_mov_b64 s[18:19], exec
	v_xad_u32 v18, v19, -1, v9
; %bb.90:                               ;   in Loop: Header=BB5_4 Depth=1
	s_or_b64 exec, exec, s[20:21]
	s_and_b64 s[18:19], s[18:19], exec
.LBB5_91:                               ;   in Loop: Header=BB5_4 Depth=1
	s_or_b64 exec, exec, s[16:17]
	s_and_b64 s[16:17], s[18:19], exec
	s_andn2_saveexec_b64 s[14:15], s[14:15]
	s_cbranch_execz .LBB5_26
.LBB5_92:                               ;   in Loop: Header=BB5_4 Depth=1
	s_mov_b64 s[20:21], exec
	v_mbcnt_lo_u32_b32 v18, s20, 0
	v_mbcnt_hi_u32_b32 v18, s21, v18
	v_cmp_eq_u32_e32 vcc, 0, v18
                                        ; implicit-def: $vgpr19
	s_and_saveexec_b64 s[18:19], vcc
	s_cbranch_execz .LBB5_94
; %bb.93:                               ;   in Loop: Header=BB5_4 Depth=1
	s_bcnt1_i32_b64 s20, s[20:21]
	v_mov_b32_e32 v19, s20
	ds_add_rtn_u32 v19, v17, v19 offset:384
.LBB5_94:                               ;   in Loop: Header=BB5_4 Depth=1
	s_or_b64 exec, exec, s[18:19]
	s_waitcnt lgkmcnt(0)
	v_readfirstlane_b32 s18, v19
	v_add_u32_e32 v18, s18, v18
	s_or_b64 s[16:17], s[16:17], exec
	s_or_b64 exec, exec, s[14:15]
	s_and_saveexec_b64 s[14:15], s[16:17]
	s_cbranch_execnz .LBB5_27
	s_branch .LBB5_28
.LBB5_95:                               ;   in Loop: Header=BB5_4 Depth=1
	v_cmp_eq_u32_e32 vcc, v19, v23
	s_mov_b64 s[18:19], 0
                                        ; implicit-def: $vgpr18
	s_and_saveexec_b64 s[16:17], vcc
	s_cbranch_execz .LBB5_101
; %bb.96:                               ;   in Loop: Header=BB5_4 Depth=1
	s_mov_b64 s[20:21], exec
	v_mbcnt_lo_u32_b32 v18, s20, 0
	v_mbcnt_hi_u32_b32 v18, s21, v18
	v_cmp_eq_u32_e32 vcc, 0, v18
                                        ; implicit-def: $vgpr19
	s_and_saveexec_b64 s[18:19], vcc
	s_cbranch_execz .LBB5_98
; %bb.97:                               ;   in Loop: Header=BB5_4 Depth=1
	s_bcnt1_i32_b64 s20, s[20:21]
	v_mov_b32_e32 v19, s20
	ds_add_rtn_u32 v19, v17, v19 offset:512
.LBB5_98:                               ;   in Loop: Header=BB5_4 Depth=1
	s_or_b64 exec, exec, s[18:19]
	s_waitcnt lgkmcnt(0)
	v_readfirstlane_b32 s18, v19
	v_add_u32_e32 v19, s18, v18
	v_cmp_lt_i32_e32 vcc, v19, v22
	s_mov_b64 s[18:19], 0
                                        ; implicit-def: $vgpr18
	s_and_saveexec_b64 s[20:21], vcc
	s_xor_b64 s[20:21], exec, s[20:21]
; %bb.99:                               ;   in Loop: Header=BB5_4 Depth=1
	s_mov_b64 s[18:19], exec
	v_xad_u32 v18, v19, -1, v9
; %bb.100:                              ;   in Loop: Header=BB5_4 Depth=1
	s_or_b64 exec, exec, s[20:21]
	s_and_b64 s[18:19], s[18:19], exec
.LBB5_101:                              ;   in Loop: Header=BB5_4 Depth=1
	s_or_b64 exec, exec, s[16:17]
	s_and_b64 s[16:17], s[18:19], exec
	s_andn2_saveexec_b64 s[14:15], s[14:15]
	s_cbranch_execz .LBB5_30
.LBB5_102:                              ;   in Loop: Header=BB5_4 Depth=1
	s_mov_b64 s[20:21], exec
	v_mbcnt_lo_u32_b32 v18, s20, 0
	v_mbcnt_hi_u32_b32 v18, s21, v18
	v_cmp_eq_u32_e32 vcc, 0, v18
                                        ; implicit-def: $vgpr19
	s_and_saveexec_b64 s[18:19], vcc
	s_cbranch_execz .LBB5_104
; %bb.103:                              ;   in Loop: Header=BB5_4 Depth=1
	s_bcnt1_i32_b64 s20, s[20:21]
	v_mov_b32_e32 v19, s20
	ds_add_rtn_u32 v19, v17, v19 offset:384
.LBB5_104:                              ;   in Loop: Header=BB5_4 Depth=1
	s_or_b64 exec, exec, s[18:19]
	s_waitcnt lgkmcnt(0)
	v_readfirstlane_b32 s18, v19
	v_add_u32_e32 v18, s18, v18
	s_or_b64 s[16:17], s[16:17], exec
	s_or_b64 exec, exec, s[14:15]
	s_and_saveexec_b64 s[14:15], s[16:17]
	s_cbranch_execnz .LBB5_31
	s_branch .LBB5_32
.LBB5_105:                              ;   in Loop: Header=BB5_4 Depth=1
	v_cmp_eq_u32_e32 vcc, v19, v23
	s_mov_b64 s[18:19], 0
                                        ; implicit-def: $vgpr18
	s_and_saveexec_b64 s[16:17], vcc
	s_cbranch_execz .LBB5_111
; %bb.106:                              ;   in Loop: Header=BB5_4 Depth=1
	s_mov_b64 s[20:21], exec
	v_mbcnt_lo_u32_b32 v18, s20, 0
	v_mbcnt_hi_u32_b32 v18, s21, v18
	v_cmp_eq_u32_e32 vcc, 0, v18
                                        ; implicit-def: $vgpr19
	s_and_saveexec_b64 s[18:19], vcc
	s_cbranch_execz .LBB5_108
; %bb.107:                              ;   in Loop: Header=BB5_4 Depth=1
	s_bcnt1_i32_b64 s20, s[20:21]
	v_mov_b32_e32 v19, s20
	ds_add_rtn_u32 v19, v17, v19 offset:512
.LBB5_108:                              ;   in Loop: Header=BB5_4 Depth=1
	s_or_b64 exec, exec, s[18:19]
	s_waitcnt lgkmcnt(0)
	v_readfirstlane_b32 s18, v19
	v_add_u32_e32 v19, s18, v18
	v_cmp_lt_i32_e32 vcc, v19, v22
	s_mov_b64 s[18:19], 0
                                        ; implicit-def: $vgpr18
	s_and_saveexec_b64 s[20:21], vcc
	s_xor_b64 s[20:21], exec, s[20:21]
; %bb.109:                              ;   in Loop: Header=BB5_4 Depth=1
	s_mov_b64 s[18:19], exec
	v_xad_u32 v18, v19, -1, v9
; %bb.110:                              ;   in Loop: Header=BB5_4 Depth=1
	s_or_b64 exec, exec, s[20:21]
	s_and_b64 s[18:19], s[18:19], exec
.LBB5_111:                              ;   in Loop: Header=BB5_4 Depth=1
	s_or_b64 exec, exec, s[16:17]
	s_and_b64 s[16:17], s[18:19], exec
	s_andn2_saveexec_b64 s[14:15], s[14:15]
	s_cbranch_execz .LBB5_34
.LBB5_112:                              ;   in Loop: Header=BB5_4 Depth=1
	s_mov_b64 s[20:21], exec
	v_mbcnt_lo_u32_b32 v18, s20, 0
	v_mbcnt_hi_u32_b32 v18, s21, v18
	v_cmp_eq_u32_e32 vcc, 0, v18
                                        ; implicit-def: $vgpr19
	s_and_saveexec_b64 s[18:19], vcc
	s_cbranch_execz .LBB5_114
; %bb.113:                              ;   in Loop: Header=BB5_4 Depth=1
	s_bcnt1_i32_b64 s20, s[20:21]
	v_mov_b32_e32 v19, s20
	ds_add_rtn_u32 v19, v17, v19 offset:384
.LBB5_114:                              ;   in Loop: Header=BB5_4 Depth=1
	s_or_b64 exec, exec, s[18:19]
	s_waitcnt lgkmcnt(0)
	v_readfirstlane_b32 s18, v19
	v_add_u32_e32 v18, s18, v18
	s_or_b64 s[16:17], s[16:17], exec
	s_or_b64 exec, exec, s[14:15]
	s_and_saveexec_b64 s[14:15], s[16:17]
	s_cbranch_execz .LBB5_3
.LBB5_115:                              ;   in Loop: Header=BB5_4 Depth=1
	v_ashrrev_i32_e32 v19, 31, v18
	v_lshlrev_b64 v[18:19], 2, v[18:19]
	v_add_co_u32_e32 v28, vcc, v4, v18
	v_addc_co_u32_e32 v29, vcc, v5, v19, vcc
	v_add_co_u32_e32 v18, vcc, v6, v18
	v_addc_co_u32_e32 v19, vcc, v7, v19, vcc
	flat_store_dword v[28:29], v16
	flat_store_dword v[18:19], v26
	s_branch .LBB5_3
.LBB5_116:
	s_or_b64 exec, exec, s[10:11]
.LBB5_117:
	s_or_b64 exec, exec, s[6:7]
	v_cmp_lt_i32_e32 vcc, v10, v8
	s_and_saveexec_b64 s[6:7], vcc
	s_cbranch_execz .LBB5_134
; %bb.118:
	v_lshlrev_b32_e64 v16, v11, -1
	s_mov_b32 s14, 0
	v_mov_b32_e32 v11, 0
	v_lshlrev_b64 v[12:13], 2, v[10:11]
	s_lshl_b32 s22, s13, 2
	s_mov_b64 s[10:11], 0
	v_bfrev_b32_e32 v17, -2
	v_mov_b32_e32 v18, s14
	s_branch .LBB5_120
.LBB5_119:                              ;   in Loop: Header=BB5_120 Depth=1
	s_or_b64 exec, exec, s[14:15]
	v_add_u32_e32 v10, s13, v10
	v_cmp_ge_i32_e32 vcc, v10, v8
	s_or_b64 s[10:11], vcc, s[10:11]
	v_add_co_u32_e32 v12, vcc, s22, v12
	v_addc_co_u32_e32 v13, vcc, v13, v18, vcc
	s_andn2_b64 exec, exec, s[10:11]
	s_cbranch_execz .LBB5_134
.LBB5_120:                              ; =>This Inner Loop Header: Depth=1
	v_add_co_u32_e32 v14, vcc, v0, v12
	v_addc_co_u32_e32 v15, vcc, v1, v13, vcc
	flat_load_dword v19, v[14:15]
	v_add_co_u32_e32 v14, vcc, v2, v12
	v_addc_co_u32_e32 v15, vcc, v3, v13, vcc
	flat_load_dword v20, v[14:15]
	s_mov_b64 s[16:17], 0
	s_waitcnt vmcnt(0) lgkmcnt(0)
	v_cmp_gt_i32_e32 vcc, 0, v19
	v_cndmask_b32_e64 v14, v17, 0, vcc
	v_xor_b32_e32 v14, v14, v19
	v_and_b32_e32 v15, v14, v16
	v_cmp_ge_u32_e32 vcc, v15, v23
                                        ; implicit-def: $vgpr14
	s_and_saveexec_b64 s[14:15], vcc
	s_xor_b64 s[14:15], exec, s[14:15]
	s_cbranch_execnz .LBB5_123
; %bb.121:                              ;   in Loop: Header=BB5_120 Depth=1
	s_andn2_saveexec_b64 s[14:15], s[14:15]
	s_cbranch_execnz .LBB5_130
.LBB5_122:                              ;   in Loop: Header=BB5_120 Depth=1
	s_or_b64 exec, exec, s[14:15]
	s_and_saveexec_b64 s[14:15], s[16:17]
	s_cbranch_execz .LBB5_119
	s_branch .LBB5_133
.LBB5_123:                              ;   in Loop: Header=BB5_120 Depth=1
	v_cmp_eq_u32_e32 vcc, v15, v23
	s_mov_b64 s[18:19], 0
                                        ; implicit-def: $vgpr14
	s_and_saveexec_b64 s[16:17], vcc
	s_cbranch_execz .LBB5_129
; %bb.124:                              ;   in Loop: Header=BB5_120 Depth=1
	s_mov_b64 s[20:21], exec
	v_mbcnt_lo_u32_b32 v14, s20, 0
	v_mbcnt_hi_u32_b32 v14, s21, v14
	v_cmp_eq_u32_e32 vcc, 0, v14
                                        ; implicit-def: $vgpr15
	s_and_saveexec_b64 s[18:19], vcc
	s_cbranch_execz .LBB5_126
; %bb.125:                              ;   in Loop: Header=BB5_120 Depth=1
	s_bcnt1_i32_b64 s20, s[20:21]
	v_mov_b32_e32 v15, s20
	ds_add_rtn_u32 v15, v11, v15 offset:512
.LBB5_126:                              ;   in Loop: Header=BB5_120 Depth=1
	s_or_b64 exec, exec, s[18:19]
	s_waitcnt lgkmcnt(0)
	v_readfirstlane_b32 s18, v15
	v_add_u32_e32 v15, s18, v14
	v_cmp_lt_i32_e32 vcc, v15, v22
	s_mov_b64 s[18:19], 0
                                        ; implicit-def: $vgpr14
	s_and_saveexec_b64 s[20:21], vcc
	s_xor_b64 s[20:21], exec, s[20:21]
; %bb.127:                              ;   in Loop: Header=BB5_120 Depth=1
	s_mov_b64 s[18:19], exec
	v_xad_u32 v14, v15, -1, v9
; %bb.128:                              ;   in Loop: Header=BB5_120 Depth=1
	s_or_b64 exec, exec, s[20:21]
	s_and_b64 s[18:19], s[18:19], exec
.LBB5_129:                              ;   in Loop: Header=BB5_120 Depth=1
	s_or_b64 exec, exec, s[16:17]
	s_and_b64 s[16:17], s[18:19], exec
	s_andn2_saveexec_b64 s[14:15], s[14:15]
	s_cbranch_execz .LBB5_122
.LBB5_130:                              ;   in Loop: Header=BB5_120 Depth=1
	s_mov_b64 s[20:21], exec
	v_mbcnt_lo_u32_b32 v14, s20, 0
	v_mbcnt_hi_u32_b32 v14, s21, v14
	v_cmp_eq_u32_e32 vcc, 0, v14
                                        ; implicit-def: $vgpr15
	s_and_saveexec_b64 s[18:19], vcc
	s_cbranch_execz .LBB5_132
; %bb.131:                              ;   in Loop: Header=BB5_120 Depth=1
	s_bcnt1_i32_b64 s20, s[20:21]
	v_mov_b32_e32 v15, s20
	ds_add_rtn_u32 v15, v11, v15 offset:384
.LBB5_132:                              ;   in Loop: Header=BB5_120 Depth=1
	s_or_b64 exec, exec, s[18:19]
	s_waitcnt lgkmcnt(0)
	v_readfirstlane_b32 s18, v15
	v_add_u32_e32 v14, s18, v14
	s_or_b64 s[16:17], s[16:17], exec
	s_or_b64 exec, exec, s[14:15]
	s_and_saveexec_b64 s[14:15], s[16:17]
	s_cbranch_execz .LBB5_119
.LBB5_133:                              ;   in Loop: Header=BB5_120 Depth=1
	v_ashrrev_i32_e32 v15, 31, v14
	v_lshlrev_b64 v[14:15], 2, v[14:15]
	v_add_co_u32_e32 v24, vcc, v4, v14
	v_addc_co_u32_e32 v25, vcc, v5, v15, vcc
	v_add_co_u32_e32 v14, vcc, v6, v14
	v_addc_co_u32_e32 v15, vcc, v7, v15, vcc
	flat_store_dword v[24:25], v19
	flat_store_dword v[14:15], v20
	s_branch .LBB5_119
.LBB5_134:
	s_or_b64 exec, exec, s[6:7]
                                        ; implicit-def: $vgpr11
                                        ; implicit-def: $vgpr0
                                        ; implicit-def: $vgpr1
                                        ; implicit-def: $vgpr4
                                        ; implicit-def: $vgpr5
                                        ; implicit-def: $vgpr6
                                        ; implicit-def: $vgpr7
                                        ; implicit-def: $vgpr8
                                        ; implicit-def: $vgpr9
                                        ; implicit-def: $vgpr31
                                        ; implicit-def: $vgpr22_vgpr23
.LBB5_135:
	s_andn2_saveexec_b64 s[4:5], s[4:5]
	s_cbranch_execz .LBB5_434
; %bb.136:
	s_load_dword s6, s[8:9], 0x0
	v_mov_b32_e32 v3, 0
	v_and_b32_e32 v10, 15, v0
	v_lshlrev_b32_e64 v34, v11, -1
	v_mov_b32_e32 v11, v3
	s_waitcnt lgkmcnt(0)
	s_cmp_lt_u32 s12, s6
	s_cselect_b32 s6, 12, 18
	s_add_u32 s6, s8, s6
	s_addc_u32 s7, s9, 0
	global_load_ushort v12, v3, s[6:7]
	v_sub_u32_e32 v13, 16, v10
	v_lshrrev_b32_e32 v13, 2, v13
	v_cmp_ne_u64_e32 vcc, 0, v[10:11]
	v_cndmask_b32_e32 v10, 0, v13, vcc
	v_min_i32_e32 v24, v10, v8
	v_ashrrev_i32_e32 v25, 31, v24
	v_sub_u32_e32 v13, v8, v24
	v_lshlrev_b64 v[10:11], 2, v[24:25]
	v_ashrrev_i32_e32 v14, 31, v13
	v_add_co_u32_e32 v25, vcc, v0, v10
	v_lshrrev_b32_e32 v10, 30, v14
	v_add_u32_e32 v10, v13, v10
	v_and_b32_e32 v2, 0x3ff, v31
	v_ashrrev_i32_e32 v26, 2, v10
	v_addc_co_u32_e32 v35, vcc, v1, v11, vcc
	v_ashrrev_i32_e32 v27, 31, v26
	s_mov_b64 s[6:7], 0
	v_mov_b32_e32 v28, v2
	s_waitcnt vmcnt(0)
	v_and_b32_e32 v36, 0xffff, v12
	v_mad_u64_u32 v[30:31], s[8:9], v36, 3, v[2:3]
	v_lshlrev_b32_e32 v37, 2, v36
	v_cmp_lt_u64_e32 vcc, v[30:31], v[26:27]
	s_and_saveexec_b64 s[8:9], vcc
	s_cbranch_execz .LBB5_364
; %bb.137:
	v_mul_lo_u32 v38, v36, 3
	v_lshlrev_b32_e32 v39, 4, v36
	v_bfrev_b32_e32 v48, -2
	v_pk_mov_b32 v[28:29], v[2:3], v[2:3] op_sel:[0,1]
	s_branch .LBB5_139
.LBB5_138:                              ;   in Loop: Header=BB5_139 Depth=1
	s_or_b64 exec, exec, s[10:11]
	v_add_u32_e32 v28, v37, v28
	v_ashrrev_i32_e32 v29, 31, v28
	v_add_co_u32_e32 v30, vcc, v38, v28
	v_addc_co_u32_e32 v31, vcc, 0, v29, vcc
	v_cmp_ge_u64_e32 vcc, v[30:31], v[26:27]
	s_or_b64 s[6:7], vcc, s[6:7]
	s_andn2_b64 exec, exec, s[6:7]
	s_cbranch_execz .LBB5_363
.LBB5_139:                              ; =>This Inner Loop Header: Depth=1
	v_lshlrev_b64 v[10:11], 4, v[28:29]
	v_add_co_u32_e32 v14, vcc, v25, v10
	v_addc_co_u32_e32 v15, vcc, v35, v11, vcc
	flat_load_dwordx4 v[10:13], v[14:15]
	v_add_co_u32_e32 v18, vcc, v14, v39
	v_addc_co_u32_e32 v19, vcc, 0, v15, vcc
	flat_load_dwordx4 v[14:17], v[18:19]
	s_mov_b64 s[12:13], 0
	s_waitcnt vmcnt(0) lgkmcnt(0)
	v_cmp_gt_i32_e32 vcc, 0, v10
	v_cndmask_b32_e64 v20, v48, 0, vcc
	v_xor_b32_e32 v20, v20, v10
	v_and_b32_e32 v21, v20, v34
	v_cmp_ge_u32_e32 vcc, v21, v23
                                        ; implicit-def: $vgpr20
	s_and_saveexec_b64 s[10:11], vcc
	s_xor_b64 s[10:11], exec, s[10:11]
	s_cbranch_execnz .LBB5_222
; %bb.140:                              ;   in Loop: Header=BB5_139 Depth=1
	s_andn2_saveexec_b64 s[10:11], s[10:11]
	s_cbranch_execnz .LBB5_229
.LBB5_141:                              ;   in Loop: Header=BB5_139 Depth=1
	s_or_b64 exec, exec, s[10:11]
	v_lshl_add_u32 v29, v28, 2, v24
	s_and_saveexec_b64 s[10:11], s[12:13]
	s_cbranch_execz .LBB5_143
.LBB5_142:                              ;   in Loop: Header=BB5_139 Depth=1
	v_ashrrev_i32_e32 v21, 31, v20
	v_lshlrev_b64 v[20:21], 2, v[20:21]
	v_add_co_u32_e32 v32, vcc, v4, v20
	v_addc_co_u32_e32 v33, vcc, v5, v21, vcc
	v_add_co_u32_e32 v20, vcc, v6, v20
	v_addc_co_u32_e32 v21, vcc, v7, v21, vcc
	flat_store_dword v[32:33], v10
	flat_store_dword v[20:21], v29
.LBB5_143:                              ;   in Loop: Header=BB5_139 Depth=1
	s_or_b64 exec, exec, s[10:11]
	v_cmp_gt_i32_e32 vcc, 0, v11
	v_cndmask_b32_e64 v10, v48, 0, vcc
	v_xor_b32_e32 v10, v10, v11
	v_and_b32_e32 v10, v10, v34
	v_cmp_ge_u32_e32 vcc, v10, v23
	s_mov_b64 s[12:13], 0
                                        ; implicit-def: $vgpr20
	s_and_saveexec_b64 s[10:11], vcc
	s_xor_b64 s[10:11], exec, s[10:11]
	s_cbranch_execnz .LBB5_232
; %bb.144:                              ;   in Loop: Header=BB5_139 Depth=1
	s_andn2_saveexec_b64 s[10:11], s[10:11]
	s_cbranch_execnz .LBB5_239
.LBB5_145:                              ;   in Loop: Header=BB5_139 Depth=1
	s_or_b64 exec, exec, s[10:11]
	s_and_saveexec_b64 s[10:11], s[12:13]
	s_cbranch_execz .LBB5_147
.LBB5_146:                              ;   in Loop: Header=BB5_139 Depth=1
	v_ashrrev_i32_e32 v21, 31, v20
	v_lshlrev_b64 v[20:21], 2, v[20:21]
	v_add_co_u32_e32 v32, vcc, v4, v20
	v_addc_co_u32_e32 v33, vcc, v5, v21, vcc
	v_add_co_u32_e32 v10, vcc, v6, v20
	v_add_u32_e32 v49, 1, v29
	flat_store_dword v[32:33], v11
	v_addc_co_u32_e32 v11, vcc, v7, v21, vcc
	flat_store_dword v[10:11], v49
.LBB5_147:                              ;   in Loop: Header=BB5_139 Depth=1
	s_or_b64 exec, exec, s[10:11]
	v_cmp_gt_i32_e32 vcc, 0, v12
	v_cndmask_b32_e64 v10, v48, 0, vcc
	v_xor_b32_e32 v10, v10, v12
	v_and_b32_e32 v11, v10, v34
	v_cmp_ge_u32_e32 vcc, v11, v23
	s_mov_b64 s[12:13], 0
                                        ; implicit-def: $vgpr10
	s_and_saveexec_b64 s[10:11], vcc
	s_xor_b64 s[10:11], exec, s[10:11]
	s_cbranch_execnz .LBB5_242
; %bb.148:                              ;   in Loop: Header=BB5_139 Depth=1
	s_andn2_saveexec_b64 s[10:11], s[10:11]
	s_cbranch_execnz .LBB5_249
.LBB5_149:                              ;   in Loop: Header=BB5_139 Depth=1
	s_or_b64 exec, exec, s[10:11]
	s_and_saveexec_b64 s[10:11], s[12:13]
	s_cbranch_execz .LBB5_151
.LBB5_150:                              ;   in Loop: Header=BB5_139 Depth=1
	v_ashrrev_i32_e32 v11, 31, v10
	v_lshlrev_b64 v[10:11], 2, v[10:11]
	v_add_co_u32_e32 v20, vcc, v4, v10
	v_addc_co_u32_e32 v21, vcc, v5, v11, vcc
	v_add_co_u32_e32 v10, vcc, v6, v10
	v_add_u32_e32 v32, 2, v29
	v_addc_co_u32_e32 v11, vcc, v7, v11, vcc
	flat_store_dword v[20:21], v12
	flat_store_dword v[10:11], v32
.LBB5_151:                              ;   in Loop: Header=BB5_139 Depth=1
	s_or_b64 exec, exec, s[10:11]
	v_cmp_gt_i32_e32 vcc, 0, v13
	v_cndmask_b32_e64 v10, v48, 0, vcc
	v_xor_b32_e32 v10, v10, v13
	v_and_b32_e32 v11, v10, v34
	v_cmp_ge_u32_e32 vcc, v11, v23
	s_mov_b64 s[12:13], 0
                                        ; implicit-def: $vgpr10
	s_and_saveexec_b64 s[10:11], vcc
	s_xor_b64 s[10:11], exec, s[10:11]
	s_cbranch_execnz .LBB5_252
; %bb.152:                              ;   in Loop: Header=BB5_139 Depth=1
	s_andn2_saveexec_b64 s[10:11], s[10:11]
	s_cbranch_execnz .LBB5_259
.LBB5_153:                              ;   in Loop: Header=BB5_139 Depth=1
	s_or_b64 exec, exec, s[10:11]
	s_and_saveexec_b64 s[10:11], s[12:13]
	s_cbranch_execz .LBB5_155
.LBB5_154:                              ;   in Loop: Header=BB5_139 Depth=1
	v_ashrrev_i32_e32 v11, 31, v10
	v_lshlrev_b64 v[10:11], 2, v[10:11]
	v_add_co_u32_e32 v20, vcc, v4, v10
	v_addc_co_u32_e32 v21, vcc, v5, v11, vcc
	v_add_co_u32_e32 v10, vcc, v6, v10
	v_add_u32_e32 v12, 3, v29
	v_addc_co_u32_e32 v11, vcc, v7, v11, vcc
	flat_store_dword v[20:21], v13
	flat_store_dword v[10:11], v12
.LBB5_155:                              ;   in Loop: Header=BB5_139 Depth=1
	s_or_b64 exec, exec, s[10:11]
	v_add_co_u32_e32 v10, vcc, v18, v39
	v_addc_co_u32_e32 v11, vcc, 0, v19, vcc
	v_lshlrev_b64 v[12:13], 4, v[30:31]
	v_add_co_u32_e32 v12, vcc, v25, v12
	v_addc_co_u32_e32 v13, vcc, v35, v13, vcc
	flat_load_dwordx4 v[18:21], v[10:11]
	s_nop 0
	flat_load_dwordx4 v[10:13], v[12:13]
	v_cmp_gt_i32_e32 vcc, 0, v14
	v_cndmask_b32_e64 v29, v48, 0, vcc
	v_xor_b32_e32 v29, v29, v14
	v_and_b32_e32 v29, v29, v34
	v_cmp_ge_u32_e32 vcc, v29, v23
	s_mov_b64 s[12:13], 0
                                        ; implicit-def: $vgpr32
	s_and_saveexec_b64 s[10:11], vcc
	s_xor_b64 s[10:11], exec, s[10:11]
	s_cbranch_execz .LBB5_163
; %bb.156:                              ;   in Loop: Header=BB5_139 Depth=1
	v_cmp_eq_u32_e32 vcc, v29, v23
	s_mov_b64 s[14:15], 0
                                        ; implicit-def: $vgpr32
	s_and_saveexec_b64 s[12:13], vcc
	s_cbranch_execz .LBB5_162
; %bb.157:                              ;   in Loop: Header=BB5_139 Depth=1
	s_mov_b64 s[16:17], exec
	v_mbcnt_lo_u32_b32 v29, s16, 0
	v_mbcnt_hi_u32_b32 v29, s17, v29
	v_cmp_eq_u32_e32 vcc, 0, v29
                                        ; implicit-def: $vgpr31
	s_and_saveexec_b64 s[14:15], vcc
	s_cbranch_execz .LBB5_159
; %bb.158:                              ;   in Loop: Header=BB5_139 Depth=1
	s_bcnt1_i32_b64 s16, s[16:17]
	v_mov_b32_e32 v31, s16
	ds_add_rtn_u32 v31, v3, v31 offset:512
.LBB5_159:                              ;   in Loop: Header=BB5_139 Depth=1
	s_or_b64 exec, exec, s[14:15]
	s_waitcnt lgkmcnt(0)
	v_readfirstlane_b32 s14, v31
	v_add_u32_e32 v29, s14, v29
	v_cmp_lt_i32_e32 vcc, v29, v22
	s_mov_b64 s[14:15], 0
                                        ; implicit-def: $vgpr32
	s_and_saveexec_b64 s[16:17], vcc
	s_xor_b64 s[16:17], exec, s[16:17]
; %bb.160:                              ;   in Loop: Header=BB5_139 Depth=1
	s_mov_b64 s[14:15], exec
	v_xad_u32 v32, v29, -1, v9
; %bb.161:                              ;   in Loop: Header=BB5_139 Depth=1
	s_or_b64 exec, exec, s[16:17]
	s_and_b64 s[14:15], s[14:15], exec
.LBB5_162:                              ;   in Loop: Header=BB5_139 Depth=1
	s_or_b64 exec, exec, s[12:13]
	s_and_b64 s[12:13], s[14:15], exec
.LBB5_163:                              ;   in Loop: Header=BB5_139 Depth=1
	s_andn2_saveexec_b64 s[10:11], s[10:11]
	s_cbranch_execz .LBB5_167
; %bb.164:                              ;   in Loop: Header=BB5_139 Depth=1
	s_mov_b64 s[16:17], exec
	v_mbcnt_lo_u32_b32 v29, s16, 0
	v_mbcnt_hi_u32_b32 v29, s17, v29
	v_cmp_eq_u32_e32 vcc, 0, v29
                                        ; implicit-def: $vgpr31
	s_and_saveexec_b64 s[14:15], vcc
	s_cbranch_execz .LBB5_166
; %bb.165:                              ;   in Loop: Header=BB5_139 Depth=1
	s_bcnt1_i32_b64 s16, s[16:17]
	v_mov_b32_e32 v31, s16
	ds_add_rtn_u32 v31, v3, v31 offset:384
.LBB5_166:                              ;   in Loop: Header=BB5_139 Depth=1
	s_or_b64 exec, exec, s[14:15]
	s_waitcnt lgkmcnt(0)
	v_readfirstlane_b32 s14, v31
	v_add_u32_e32 v32, s14, v29
	s_or_b64 s[12:13], s[12:13], exec
.LBB5_167:                              ;   in Loop: Header=BB5_139 Depth=1
	s_or_b64 exec, exec, s[10:11]
	v_add_co_u32_e32 v29, vcc, v28, v36
	v_lshl_add_u32 v31, v29, 2, v24
	s_and_saveexec_b64 s[10:11], s[12:13]
	s_cbranch_execz .LBB5_169
; %bb.168:                              ;   in Loop: Header=BB5_139 Depth=1
	v_ashrrev_i32_e32 v33, 31, v32
	v_lshlrev_b64 v[32:33], 2, v[32:33]
	v_add_co_u32_e32 v50, vcc, v4, v32
	v_addc_co_u32_e32 v51, vcc, v5, v33, vcc
	v_add_co_u32_e32 v32, vcc, v6, v32
	v_addc_co_u32_e32 v33, vcc, v7, v33, vcc
	flat_store_dword v[50:51], v14
	flat_store_dword v[32:33], v31
.LBB5_169:                              ;   in Loop: Header=BB5_139 Depth=1
	s_or_b64 exec, exec, s[10:11]
	v_cmp_gt_i32_e32 vcc, 0, v15
	v_cndmask_b32_e64 v14, v48, 0, vcc
	v_xor_b32_e32 v14, v14, v15
	v_and_b32_e32 v14, v14, v34
	v_cmp_ge_u32_e32 vcc, v14, v23
	s_mov_b64 s[12:13], 0
                                        ; implicit-def: $vgpr32
	s_and_saveexec_b64 s[10:11], vcc
	s_xor_b64 s[10:11], exec, s[10:11]
	s_cbranch_execnz .LBB5_262
; %bb.170:                              ;   in Loop: Header=BB5_139 Depth=1
	s_andn2_saveexec_b64 s[10:11], s[10:11]
	s_cbranch_execnz .LBB5_269
.LBB5_171:                              ;   in Loop: Header=BB5_139 Depth=1
	s_or_b64 exec, exec, s[10:11]
	s_and_saveexec_b64 s[10:11], s[12:13]
	s_cbranch_execz .LBB5_173
.LBB5_172:                              ;   in Loop: Header=BB5_139 Depth=1
	v_ashrrev_i32_e32 v33, 31, v32
	v_lshlrev_b64 v[32:33], 2, v[32:33]
	v_add_co_u32_e32 v50, vcc, v4, v32
	v_addc_co_u32_e32 v51, vcc, v5, v33, vcc
	v_add_co_u32_e32 v14, vcc, v6, v32
	v_add_u32_e32 v49, 1, v31
	flat_store_dword v[50:51], v15
	v_addc_co_u32_e32 v15, vcc, v7, v33, vcc
	flat_store_dword v[14:15], v49
.LBB5_173:                              ;   in Loop: Header=BB5_139 Depth=1
	s_or_b64 exec, exec, s[10:11]
	v_cmp_gt_i32_e32 vcc, 0, v16
	v_cndmask_b32_e64 v14, v48, 0, vcc
	v_xor_b32_e32 v14, v14, v16
	v_and_b32_e32 v15, v14, v34
	v_cmp_ge_u32_e32 vcc, v15, v23
	s_mov_b64 s[12:13], 0
                                        ; implicit-def: $vgpr14
	s_and_saveexec_b64 s[10:11], vcc
	s_xor_b64 s[10:11], exec, s[10:11]
	s_cbranch_execnz .LBB5_272
; %bb.174:                              ;   in Loop: Header=BB5_139 Depth=1
	s_andn2_saveexec_b64 s[10:11], s[10:11]
	s_cbranch_execnz .LBB5_279
.LBB5_175:                              ;   in Loop: Header=BB5_139 Depth=1
	s_or_b64 exec, exec, s[10:11]
	s_and_saveexec_b64 s[10:11], s[12:13]
	s_cbranch_execz .LBB5_177
.LBB5_176:                              ;   in Loop: Header=BB5_139 Depth=1
	v_ashrrev_i32_e32 v15, 31, v14
	v_lshlrev_b64 v[14:15], 2, v[14:15]
	v_add_co_u32_e32 v32, vcc, v4, v14
	v_addc_co_u32_e32 v33, vcc, v5, v15, vcc
	v_add_co_u32_e32 v14, vcc, v6, v14
	v_add_u32_e32 v49, 2, v31
	v_addc_co_u32_e32 v15, vcc, v7, v15, vcc
	flat_store_dword v[32:33], v16
	flat_store_dword v[14:15], v49
.LBB5_177:                              ;   in Loop: Header=BB5_139 Depth=1
	s_or_b64 exec, exec, s[10:11]
	v_cmp_gt_i32_e32 vcc, 0, v17
	v_cndmask_b32_e64 v14, v48, 0, vcc
	v_xor_b32_e32 v14, v14, v17
	v_and_b32_e32 v15, v14, v34
	v_cmp_ge_u32_e32 vcc, v15, v23
	s_mov_b64 s[12:13], 0
                                        ; implicit-def: $vgpr14
	s_and_saveexec_b64 s[10:11], vcc
	s_xor_b64 s[10:11], exec, s[10:11]
	s_cbranch_execnz .LBB5_282
; %bb.178:                              ;   in Loop: Header=BB5_139 Depth=1
	s_andn2_saveexec_b64 s[10:11], s[10:11]
	s_cbranch_execnz .LBB5_289
.LBB5_179:                              ;   in Loop: Header=BB5_139 Depth=1
	s_or_b64 exec, exec, s[10:11]
	s_and_saveexec_b64 s[10:11], s[12:13]
	s_cbranch_execz .LBB5_181
.LBB5_180:                              ;   in Loop: Header=BB5_139 Depth=1
	v_ashrrev_i32_e32 v15, 31, v14
	v_lshlrev_b64 v[14:15], 2, v[14:15]
	v_add_co_u32_e32 v32, vcc, v4, v14
	v_addc_co_u32_e32 v33, vcc, v5, v15, vcc
	v_add_co_u32_e32 v14, vcc, v6, v14
	v_add_u32_e32 v16, 3, v31
	v_addc_co_u32_e32 v15, vcc, v7, v15, vcc
	flat_store_dword v[32:33], v17
	flat_store_dword v[14:15], v16
.LBB5_181:                              ;   in Loop: Header=BB5_139 Depth=1
	s_or_b64 exec, exec, s[10:11]
	s_waitcnt vmcnt(0) lgkmcnt(0)
	v_cmp_gt_i32_e32 vcc, 0, v18
	v_cndmask_b32_e64 v14, v48, 0, vcc
	v_xor_b32_e32 v14, v14, v18
	v_and_b32_e32 v15, v14, v34
	v_cmp_ge_u32_e32 vcc, v15, v23
	s_mov_b64 s[12:13], 0
                                        ; implicit-def: $vgpr14
	s_and_saveexec_b64 s[10:11], vcc
	s_xor_b64 s[10:11], exec, s[10:11]
	s_cbranch_execz .LBB5_189
; %bb.182:                              ;   in Loop: Header=BB5_139 Depth=1
	v_cmp_eq_u32_e32 vcc, v15, v23
	s_mov_b64 s[14:15], 0
                                        ; implicit-def: $vgpr14
	s_and_saveexec_b64 s[12:13], vcc
	s_cbranch_execz .LBB5_188
; %bb.183:                              ;   in Loop: Header=BB5_139 Depth=1
	s_mov_b64 s[16:17], exec
	v_mbcnt_lo_u32_b32 v14, s16, 0
	v_mbcnt_hi_u32_b32 v14, s17, v14
	v_cmp_eq_u32_e32 vcc, 0, v14
                                        ; implicit-def: $vgpr15
	s_and_saveexec_b64 s[14:15], vcc
	s_cbranch_execz .LBB5_185
; %bb.184:                              ;   in Loop: Header=BB5_139 Depth=1
	s_bcnt1_i32_b64 s16, s[16:17]
	v_mov_b32_e32 v15, s16
	ds_add_rtn_u32 v15, v3, v15 offset:512
.LBB5_185:                              ;   in Loop: Header=BB5_139 Depth=1
	s_or_b64 exec, exec, s[14:15]
	s_waitcnt lgkmcnt(0)
	v_readfirstlane_b32 s14, v15
	v_add_u32_e32 v15, s14, v14
	v_cmp_lt_i32_e32 vcc, v15, v22
	s_mov_b64 s[14:15], 0
                                        ; implicit-def: $vgpr14
	s_and_saveexec_b64 s[16:17], vcc
	s_xor_b64 s[16:17], exec, s[16:17]
; %bb.186:                              ;   in Loop: Header=BB5_139 Depth=1
	s_mov_b64 s[14:15], exec
	v_xad_u32 v14, v15, -1, v9
; %bb.187:                              ;   in Loop: Header=BB5_139 Depth=1
	s_or_b64 exec, exec, s[16:17]
	s_and_b64 s[14:15], s[14:15], exec
.LBB5_188:                              ;   in Loop: Header=BB5_139 Depth=1
	s_or_b64 exec, exec, s[12:13]
	s_and_b64 s[12:13], s[14:15], exec
.LBB5_189:                              ;   in Loop: Header=BB5_139 Depth=1
	s_andn2_saveexec_b64 s[10:11], s[10:11]
	s_cbranch_execz .LBB5_193
; %bb.190:                              ;   in Loop: Header=BB5_139 Depth=1
	s_mov_b64 s[16:17], exec
	v_mbcnt_lo_u32_b32 v14, s16, 0
	v_mbcnt_hi_u32_b32 v14, s17, v14
	v_cmp_eq_u32_e32 vcc, 0, v14
                                        ; implicit-def: $vgpr15
	s_and_saveexec_b64 s[14:15], vcc
	s_cbranch_execz .LBB5_192
; %bb.191:                              ;   in Loop: Header=BB5_139 Depth=1
	s_bcnt1_i32_b64 s16, s[16:17]
	v_mov_b32_e32 v15, s16
	ds_add_rtn_u32 v15, v3, v15 offset:384
.LBB5_192:                              ;   in Loop: Header=BB5_139 Depth=1
	s_or_b64 exec, exec, s[14:15]
	s_waitcnt lgkmcnt(0)
	v_readfirstlane_b32 s14, v15
	v_add_u32_e32 v14, s14, v14
	s_or_b64 s[12:13], s[12:13], exec
.LBB5_193:                              ;   in Loop: Header=BB5_139 Depth=1
	s_or_b64 exec, exec, s[10:11]
	v_add_u32_e32 v15, v29, v36
	v_lshl_add_u32 v16, v15, 2, v24
	s_and_saveexec_b64 s[10:11], s[12:13]
	s_cbranch_execz .LBB5_195
; %bb.194:                              ;   in Loop: Header=BB5_139 Depth=1
	v_ashrrev_i32_e32 v15, 31, v14
	v_lshlrev_b64 v[14:15], 2, v[14:15]
	v_add_co_u32_e32 v32, vcc, v4, v14
	v_addc_co_u32_e32 v33, vcc, v5, v15, vcc
	v_add_co_u32_e32 v14, vcc, v6, v14
	v_addc_co_u32_e32 v15, vcc, v7, v15, vcc
	flat_store_dword v[32:33], v18
	flat_store_dword v[14:15], v16
.LBB5_195:                              ;   in Loop: Header=BB5_139 Depth=1
	s_or_b64 exec, exec, s[10:11]
	v_cmp_gt_i32_e32 vcc, 0, v19
	v_cndmask_b32_e64 v14, v48, 0, vcc
	v_xor_b32_e32 v14, v14, v19
	v_and_b32_e32 v15, v14, v34
	v_cmp_ge_u32_e32 vcc, v15, v23
	s_mov_b64 s[12:13], 0
                                        ; implicit-def: $vgpr14
	s_and_saveexec_b64 s[10:11], vcc
	s_xor_b64 s[10:11], exec, s[10:11]
	s_cbranch_execnz .LBB5_292
; %bb.196:                              ;   in Loop: Header=BB5_139 Depth=1
	s_andn2_saveexec_b64 s[10:11], s[10:11]
	s_cbranch_execnz .LBB5_299
.LBB5_197:                              ;   in Loop: Header=BB5_139 Depth=1
	s_or_b64 exec, exec, s[10:11]
	s_and_saveexec_b64 s[10:11], s[12:13]
	s_cbranch_execz .LBB5_199
.LBB5_198:                              ;   in Loop: Header=BB5_139 Depth=1
	v_ashrrev_i32_e32 v15, 31, v14
	v_lshlrev_b64 v[14:15], 2, v[14:15]
	v_add_co_u32_e32 v32, vcc, v4, v14
	v_addc_co_u32_e32 v33, vcc, v5, v15, vcc
	v_add_co_u32_e32 v14, vcc, v6, v14
	v_add_u32_e32 v17, 1, v16
	v_addc_co_u32_e32 v15, vcc, v7, v15, vcc
	flat_store_dword v[32:33], v19
	flat_store_dword v[14:15], v17
.LBB5_199:                              ;   in Loop: Header=BB5_139 Depth=1
	s_or_b64 exec, exec, s[10:11]
	v_cmp_gt_i32_e32 vcc, 0, v20
	v_cndmask_b32_e64 v14, v48, 0, vcc
	v_xor_b32_e32 v14, v14, v20
	v_and_b32_e32 v15, v14, v34
	v_cmp_ge_u32_e32 vcc, v15, v23
	s_mov_b64 s[12:13], 0
                                        ; implicit-def: $vgpr14
	s_and_saveexec_b64 s[10:11], vcc
	s_xor_b64 s[10:11], exec, s[10:11]
	s_cbranch_execnz .LBB5_302
; %bb.200:                              ;   in Loop: Header=BB5_139 Depth=1
	s_andn2_saveexec_b64 s[10:11], s[10:11]
	s_cbranch_execnz .LBB5_309
.LBB5_201:                              ;   in Loop: Header=BB5_139 Depth=1
	s_or_b64 exec, exec, s[10:11]
	s_and_saveexec_b64 s[10:11], s[12:13]
	s_cbranch_execz .LBB5_203
.LBB5_202:                              ;   in Loop: Header=BB5_139 Depth=1
	v_ashrrev_i32_e32 v15, 31, v14
	v_lshlrev_b64 v[14:15], 2, v[14:15]
	v_add_co_u32_e32 v18, vcc, v4, v14
	v_addc_co_u32_e32 v19, vcc, v5, v15, vcc
	v_add_co_u32_e32 v14, vcc, v6, v14
	v_add_u32_e32 v17, 2, v16
	v_addc_co_u32_e32 v15, vcc, v7, v15, vcc
	flat_store_dword v[18:19], v20
	flat_store_dword v[14:15], v17
.LBB5_203:                              ;   in Loop: Header=BB5_139 Depth=1
	s_or_b64 exec, exec, s[10:11]
	v_cmp_gt_i32_e32 vcc, 0, v21
	v_cndmask_b32_e64 v14, v48, 0, vcc
	v_xor_b32_e32 v14, v14, v21
	v_and_b32_e32 v15, v14, v34
	v_cmp_ge_u32_e32 vcc, v15, v23
	s_mov_b64 s[12:13], 0
                                        ; implicit-def: $vgpr14
	s_and_saveexec_b64 s[10:11], vcc
	s_xor_b64 s[10:11], exec, s[10:11]
	s_cbranch_execnz .LBB5_312
; %bb.204:                              ;   in Loop: Header=BB5_139 Depth=1
	s_andn2_saveexec_b64 s[10:11], s[10:11]
	s_cbranch_execnz .LBB5_319
.LBB5_205:                              ;   in Loop: Header=BB5_139 Depth=1
	s_or_b64 exec, exec, s[10:11]
	s_and_saveexec_b64 s[10:11], s[12:13]
	s_cbranch_execz .LBB5_207
.LBB5_206:                              ;   in Loop: Header=BB5_139 Depth=1
	v_ashrrev_i32_e32 v15, 31, v14
	v_lshlrev_b64 v[14:15], 2, v[14:15]
	v_add_u32_e32 v18, 3, v16
	v_add_co_u32_e32 v16, vcc, v4, v14
	v_addc_co_u32_e32 v17, vcc, v5, v15, vcc
	v_add_co_u32_e32 v14, vcc, v6, v14
	v_addc_co_u32_e32 v15, vcc, v7, v15, vcc
	flat_store_dword v[16:17], v21
	flat_store_dword v[14:15], v18
.LBB5_207:                              ;   in Loop: Header=BB5_139 Depth=1
	s_or_b64 exec, exec, s[10:11]
	v_cmp_gt_i32_e32 vcc, 0, v10
	v_cndmask_b32_e64 v14, v48, 0, vcc
	v_xor_b32_e32 v14, v14, v10
	v_and_b32_e32 v15, v14, v34
	v_cmp_ge_u32_e32 vcc, v15, v23
	s_mov_b64 s[12:13], 0
                                        ; implicit-def: $vgpr14
	s_and_saveexec_b64 s[10:11], vcc
	s_xor_b64 s[10:11], exec, s[10:11]
	s_cbranch_execnz .LBB5_322
; %bb.208:                              ;   in Loop: Header=BB5_139 Depth=1
	s_andn2_saveexec_b64 s[10:11], s[10:11]
	s_cbranch_execnz .LBB5_329
.LBB5_209:                              ;   in Loop: Header=BB5_139 Depth=1
	s_or_b64 exec, exec, s[10:11]
	v_lshl_add_u32 v16, v30, 2, v24
	s_and_saveexec_b64 s[10:11], s[12:13]
	s_cbranch_execz .LBB5_211
.LBB5_210:                              ;   in Loop: Header=BB5_139 Depth=1
	v_ashrrev_i32_e32 v15, 31, v14
	v_lshlrev_b64 v[14:15], 2, v[14:15]
	v_add_co_u32_e32 v18, vcc, v4, v14
	v_addc_co_u32_e32 v19, vcc, v5, v15, vcc
	v_add_co_u32_e32 v14, vcc, v6, v14
	v_addc_co_u32_e32 v15, vcc, v7, v15, vcc
	flat_store_dword v[18:19], v10
	flat_store_dword v[14:15], v16
.LBB5_211:                              ;   in Loop: Header=BB5_139 Depth=1
	s_or_b64 exec, exec, s[10:11]
	v_cmp_gt_i32_e32 vcc, 0, v11
	v_cndmask_b32_e64 v10, v48, 0, vcc
	v_xor_b32_e32 v10, v10, v11
	v_and_b32_e32 v10, v10, v34
	v_cmp_ge_u32_e32 vcc, v10, v23
	s_mov_b64 s[12:13], 0
                                        ; implicit-def: $vgpr14
	s_and_saveexec_b64 s[10:11], vcc
	s_xor_b64 s[10:11], exec, s[10:11]
	s_cbranch_execnz .LBB5_332
; %bb.212:                              ;   in Loop: Header=BB5_139 Depth=1
	s_andn2_saveexec_b64 s[10:11], s[10:11]
	s_cbranch_execnz .LBB5_339
.LBB5_213:                              ;   in Loop: Header=BB5_139 Depth=1
	s_or_b64 exec, exec, s[10:11]
	s_and_saveexec_b64 s[10:11], s[12:13]
	s_cbranch_execz .LBB5_215
.LBB5_214:                              ;   in Loop: Header=BB5_139 Depth=1
	v_ashrrev_i32_e32 v15, 31, v14
	v_lshlrev_b64 v[14:15], 2, v[14:15]
	v_add_co_u32_e32 v18, vcc, v4, v14
	v_addc_co_u32_e32 v19, vcc, v5, v15, vcc
	v_add_co_u32_e32 v10, vcc, v6, v14
	v_add_u32_e32 v17, 1, v16
	flat_store_dword v[18:19], v11
	v_addc_co_u32_e32 v11, vcc, v7, v15, vcc
	flat_store_dword v[10:11], v17
.LBB5_215:                              ;   in Loop: Header=BB5_139 Depth=1
	s_or_b64 exec, exec, s[10:11]
	v_cmp_gt_i32_e32 vcc, 0, v12
	v_cndmask_b32_e64 v10, v48, 0, vcc
	v_xor_b32_e32 v10, v10, v12
	v_and_b32_e32 v11, v10, v34
	v_cmp_ge_u32_e32 vcc, v11, v23
	s_mov_b64 s[12:13], 0
                                        ; implicit-def: $vgpr10
	s_and_saveexec_b64 s[10:11], vcc
	s_xor_b64 s[10:11], exec, s[10:11]
	s_cbranch_execnz .LBB5_342
; %bb.216:                              ;   in Loop: Header=BB5_139 Depth=1
	s_andn2_saveexec_b64 s[10:11], s[10:11]
	s_cbranch_execnz .LBB5_349
.LBB5_217:                              ;   in Loop: Header=BB5_139 Depth=1
	s_or_b64 exec, exec, s[10:11]
	s_and_saveexec_b64 s[10:11], s[12:13]
	s_cbranch_execz .LBB5_219
.LBB5_218:                              ;   in Loop: Header=BB5_139 Depth=1
	v_ashrrev_i32_e32 v11, 31, v10
	v_lshlrev_b64 v[10:11], 2, v[10:11]
	v_add_co_u32_e32 v14, vcc, v4, v10
	v_addc_co_u32_e32 v15, vcc, v5, v11, vcc
	v_add_co_u32_e32 v10, vcc, v6, v10
	v_add_u32_e32 v17, 2, v16
	v_addc_co_u32_e32 v11, vcc, v7, v11, vcc
	flat_store_dword v[14:15], v12
	flat_store_dword v[10:11], v17
.LBB5_219:                              ;   in Loop: Header=BB5_139 Depth=1
	s_or_b64 exec, exec, s[10:11]
	v_cmp_gt_i32_e32 vcc, 0, v13
	v_cndmask_b32_e64 v10, v48, 0, vcc
	v_xor_b32_e32 v10, v10, v13
	v_and_b32_e32 v11, v10, v34
	v_cmp_ge_u32_e32 vcc, v11, v23
	s_mov_b64 s[12:13], 0
                                        ; implicit-def: $vgpr10
	s_and_saveexec_b64 s[10:11], vcc
	s_xor_b64 s[10:11], exec, s[10:11]
	s_cbranch_execnz .LBB5_352
; %bb.220:                              ;   in Loop: Header=BB5_139 Depth=1
	s_andn2_saveexec_b64 s[10:11], s[10:11]
	s_cbranch_execnz .LBB5_359
.LBB5_221:                              ;   in Loop: Header=BB5_139 Depth=1
	s_or_b64 exec, exec, s[10:11]
	s_and_saveexec_b64 s[10:11], s[12:13]
	s_cbranch_execz .LBB5_138
	s_branch .LBB5_362
.LBB5_222:                              ;   in Loop: Header=BB5_139 Depth=1
	v_cmp_eq_u32_e32 vcc, v21, v23
	s_mov_b64 s[14:15], 0
                                        ; implicit-def: $vgpr20
	s_and_saveexec_b64 s[12:13], vcc
	s_cbranch_execz .LBB5_228
; %bb.223:                              ;   in Loop: Header=BB5_139 Depth=1
	s_mov_b64 s[16:17], exec
	v_mbcnt_lo_u32_b32 v20, s16, 0
	v_mbcnt_hi_u32_b32 v20, s17, v20
	v_cmp_eq_u32_e32 vcc, 0, v20
                                        ; implicit-def: $vgpr21
	s_and_saveexec_b64 s[14:15], vcc
	s_cbranch_execz .LBB5_225
; %bb.224:                              ;   in Loop: Header=BB5_139 Depth=1
	s_bcnt1_i32_b64 s16, s[16:17]
	v_mov_b32_e32 v21, s16
	ds_add_rtn_u32 v21, v3, v21 offset:512
.LBB5_225:                              ;   in Loop: Header=BB5_139 Depth=1
	s_or_b64 exec, exec, s[14:15]
	s_waitcnt lgkmcnt(0)
	v_readfirstlane_b32 s14, v21
	v_add_u32_e32 v21, s14, v20
	v_cmp_lt_i32_e32 vcc, v21, v22
	s_mov_b64 s[14:15], 0
                                        ; implicit-def: $vgpr20
	s_and_saveexec_b64 s[16:17], vcc
	s_xor_b64 s[16:17], exec, s[16:17]
; %bb.226:                              ;   in Loop: Header=BB5_139 Depth=1
	s_mov_b64 s[14:15], exec
	v_xad_u32 v20, v21, -1, v9
; %bb.227:                              ;   in Loop: Header=BB5_139 Depth=1
	s_or_b64 exec, exec, s[16:17]
	s_and_b64 s[14:15], s[14:15], exec
.LBB5_228:                              ;   in Loop: Header=BB5_139 Depth=1
	s_or_b64 exec, exec, s[12:13]
	s_and_b64 s[12:13], s[14:15], exec
	s_andn2_saveexec_b64 s[10:11], s[10:11]
	s_cbranch_execz .LBB5_141
.LBB5_229:                              ;   in Loop: Header=BB5_139 Depth=1
	s_mov_b64 s[16:17], exec
	v_mbcnt_lo_u32_b32 v20, s16, 0
	v_mbcnt_hi_u32_b32 v20, s17, v20
	v_cmp_eq_u32_e32 vcc, 0, v20
                                        ; implicit-def: $vgpr21
	s_and_saveexec_b64 s[14:15], vcc
	s_cbranch_execz .LBB5_231
; %bb.230:                              ;   in Loop: Header=BB5_139 Depth=1
	s_bcnt1_i32_b64 s16, s[16:17]
	v_mov_b32_e32 v21, s16
	ds_add_rtn_u32 v21, v3, v21 offset:384
.LBB5_231:                              ;   in Loop: Header=BB5_139 Depth=1
	s_or_b64 exec, exec, s[14:15]
	s_waitcnt lgkmcnt(0)
	v_readfirstlane_b32 s14, v21
	v_add_u32_e32 v20, s14, v20
	s_or_b64 s[12:13], s[12:13], exec
	s_or_b64 exec, exec, s[10:11]
	v_lshl_add_u32 v29, v28, 2, v24
	s_and_saveexec_b64 s[10:11], s[12:13]
	s_cbranch_execnz .LBB5_142
	s_branch .LBB5_143
.LBB5_232:                              ;   in Loop: Header=BB5_139 Depth=1
	v_cmp_eq_u32_e32 vcc, v10, v23
	s_mov_b64 s[14:15], 0
                                        ; implicit-def: $vgpr20
	s_and_saveexec_b64 s[12:13], vcc
	s_cbranch_execz .LBB5_238
; %bb.233:                              ;   in Loop: Header=BB5_139 Depth=1
	s_mov_b64 s[16:17], exec
	v_mbcnt_lo_u32_b32 v10, s16, 0
	v_mbcnt_hi_u32_b32 v10, s17, v10
	v_cmp_eq_u32_e32 vcc, 0, v10
                                        ; implicit-def: $vgpr20
	s_and_saveexec_b64 s[14:15], vcc
	s_cbranch_execz .LBB5_235
; %bb.234:                              ;   in Loop: Header=BB5_139 Depth=1
	s_bcnt1_i32_b64 s16, s[16:17]
	v_mov_b32_e32 v20, s16
	ds_add_rtn_u32 v20, v3, v20 offset:512
.LBB5_235:                              ;   in Loop: Header=BB5_139 Depth=1
	s_or_b64 exec, exec, s[14:15]
	s_waitcnt lgkmcnt(0)
	v_readfirstlane_b32 s14, v20
	v_add_u32_e32 v10, s14, v10
	v_cmp_lt_i32_e32 vcc, v10, v22
	s_mov_b64 s[14:15], 0
                                        ; implicit-def: $vgpr20
	s_and_saveexec_b64 s[16:17], vcc
; %bb.236:                              ;   in Loop: Header=BB5_139 Depth=1
	s_mov_b64 s[14:15], exec
	v_xad_u32 v20, v10, -1, v9
; %bb.237:                              ;   in Loop: Header=BB5_139 Depth=1
	s_or_b64 exec, exec, s[16:17]
	s_and_b64 s[14:15], s[14:15], exec
.LBB5_238:                              ;   in Loop: Header=BB5_139 Depth=1
	s_or_b64 exec, exec, s[12:13]
	s_and_b64 s[12:13], s[14:15], exec
	s_andn2_saveexec_b64 s[10:11], s[10:11]
	s_cbranch_execz .LBB5_145
.LBB5_239:                              ;   in Loop: Header=BB5_139 Depth=1
	s_mov_b64 s[16:17], exec
	v_mbcnt_lo_u32_b32 v10, s16, 0
	v_mbcnt_hi_u32_b32 v10, s17, v10
	v_cmp_eq_u32_e32 vcc, 0, v10
                                        ; implicit-def: $vgpr20
	s_and_saveexec_b64 s[14:15], vcc
	s_cbranch_execz .LBB5_241
; %bb.240:                              ;   in Loop: Header=BB5_139 Depth=1
	s_bcnt1_i32_b64 s16, s[16:17]
	v_mov_b32_e32 v20, s16
	ds_add_rtn_u32 v20, v3, v20 offset:384
.LBB5_241:                              ;   in Loop: Header=BB5_139 Depth=1
	s_or_b64 exec, exec, s[14:15]
	s_waitcnt lgkmcnt(0)
	v_readfirstlane_b32 s14, v20
	v_add_u32_e32 v20, s14, v10
	s_or_b64 s[12:13], s[12:13], exec
	s_or_b64 exec, exec, s[10:11]
	s_and_saveexec_b64 s[10:11], s[12:13]
	s_cbranch_execnz .LBB5_146
	s_branch .LBB5_147
.LBB5_242:                              ;   in Loop: Header=BB5_139 Depth=1
	v_cmp_eq_u32_e32 vcc, v11, v23
	s_mov_b64 s[14:15], 0
                                        ; implicit-def: $vgpr10
	s_and_saveexec_b64 s[12:13], vcc
	s_cbranch_execz .LBB5_248
; %bb.243:                              ;   in Loop: Header=BB5_139 Depth=1
	s_mov_b64 s[16:17], exec
	v_mbcnt_lo_u32_b32 v10, s16, 0
	v_mbcnt_hi_u32_b32 v10, s17, v10
	v_cmp_eq_u32_e32 vcc, 0, v10
                                        ; implicit-def: $vgpr11
	s_and_saveexec_b64 s[14:15], vcc
	s_cbranch_execz .LBB5_245
; %bb.244:                              ;   in Loop: Header=BB5_139 Depth=1
	s_bcnt1_i32_b64 s16, s[16:17]
	v_mov_b32_e32 v11, s16
	ds_add_rtn_u32 v11, v3, v11 offset:512
.LBB5_245:                              ;   in Loop: Header=BB5_139 Depth=1
	s_or_b64 exec, exec, s[14:15]
	s_waitcnt lgkmcnt(0)
	v_readfirstlane_b32 s14, v11
	v_add_u32_e32 v11, s14, v10
	v_cmp_lt_i32_e32 vcc, v11, v22
	s_mov_b64 s[14:15], 0
                                        ; implicit-def: $vgpr10
	s_and_saveexec_b64 s[16:17], vcc
; %bb.246:                              ;   in Loop: Header=BB5_139 Depth=1
	s_mov_b64 s[14:15], exec
	v_xad_u32 v10, v11, -1, v9
; %bb.247:                              ;   in Loop: Header=BB5_139 Depth=1
	s_or_b64 exec, exec, s[16:17]
	s_and_b64 s[14:15], s[14:15], exec
.LBB5_248:                              ;   in Loop: Header=BB5_139 Depth=1
	s_or_b64 exec, exec, s[12:13]
	s_and_b64 s[12:13], s[14:15], exec
	s_andn2_saveexec_b64 s[10:11], s[10:11]
	s_cbranch_execz .LBB5_149
.LBB5_249:                              ;   in Loop: Header=BB5_139 Depth=1
	s_mov_b64 s[16:17], exec
	v_mbcnt_lo_u32_b32 v10, s16, 0
	v_mbcnt_hi_u32_b32 v10, s17, v10
	v_cmp_eq_u32_e32 vcc, 0, v10
                                        ; implicit-def: $vgpr11
	s_and_saveexec_b64 s[14:15], vcc
	s_cbranch_execz .LBB5_251
; %bb.250:                              ;   in Loop: Header=BB5_139 Depth=1
	s_bcnt1_i32_b64 s16, s[16:17]
	v_mov_b32_e32 v11, s16
	ds_add_rtn_u32 v11, v3, v11 offset:384
.LBB5_251:                              ;   in Loop: Header=BB5_139 Depth=1
	s_or_b64 exec, exec, s[14:15]
	s_waitcnt lgkmcnt(0)
	v_readfirstlane_b32 s14, v11
	v_add_u32_e32 v10, s14, v10
	s_or_b64 s[12:13], s[12:13], exec
	s_or_b64 exec, exec, s[10:11]
	s_and_saveexec_b64 s[10:11], s[12:13]
	s_cbranch_execnz .LBB5_150
	s_branch .LBB5_151
.LBB5_252:                              ;   in Loop: Header=BB5_139 Depth=1
	v_cmp_eq_u32_e32 vcc, v11, v23
	s_mov_b64 s[14:15], 0
                                        ; implicit-def: $vgpr10
	s_and_saveexec_b64 s[12:13], vcc
	s_cbranch_execz .LBB5_258
; %bb.253:                              ;   in Loop: Header=BB5_139 Depth=1
	s_mov_b64 s[16:17], exec
	v_mbcnt_lo_u32_b32 v10, s16, 0
	v_mbcnt_hi_u32_b32 v10, s17, v10
	v_cmp_eq_u32_e32 vcc, 0, v10
                                        ; implicit-def: $vgpr11
	s_and_saveexec_b64 s[14:15], vcc
	s_cbranch_execz .LBB5_255
; %bb.254:                              ;   in Loop: Header=BB5_139 Depth=1
	s_bcnt1_i32_b64 s16, s[16:17]
	v_mov_b32_e32 v11, s16
	ds_add_rtn_u32 v11, v3, v11 offset:512
.LBB5_255:                              ;   in Loop: Header=BB5_139 Depth=1
	s_or_b64 exec, exec, s[14:15]
	s_waitcnt lgkmcnt(0)
	v_readfirstlane_b32 s14, v11
	v_add_u32_e32 v11, s14, v10
	v_cmp_lt_i32_e32 vcc, v11, v22
	s_mov_b64 s[14:15], 0
                                        ; implicit-def: $vgpr10
	s_and_saveexec_b64 s[16:17], vcc
; %bb.256:                              ;   in Loop: Header=BB5_139 Depth=1
	s_mov_b64 s[14:15], exec
	v_xad_u32 v10, v11, -1, v9
; %bb.257:                              ;   in Loop: Header=BB5_139 Depth=1
	s_or_b64 exec, exec, s[16:17]
	s_and_b64 s[14:15], s[14:15], exec
.LBB5_258:                              ;   in Loop: Header=BB5_139 Depth=1
	s_or_b64 exec, exec, s[12:13]
	s_and_b64 s[12:13], s[14:15], exec
	s_andn2_saveexec_b64 s[10:11], s[10:11]
	s_cbranch_execz .LBB5_153
.LBB5_259:                              ;   in Loop: Header=BB5_139 Depth=1
	s_mov_b64 s[16:17], exec
	v_mbcnt_lo_u32_b32 v10, s16, 0
	v_mbcnt_hi_u32_b32 v10, s17, v10
	v_cmp_eq_u32_e32 vcc, 0, v10
                                        ; implicit-def: $vgpr11
	s_and_saveexec_b64 s[14:15], vcc
	s_cbranch_execz .LBB5_261
; %bb.260:                              ;   in Loop: Header=BB5_139 Depth=1
	s_bcnt1_i32_b64 s16, s[16:17]
	v_mov_b32_e32 v11, s16
	ds_add_rtn_u32 v11, v3, v11 offset:384
.LBB5_261:                              ;   in Loop: Header=BB5_139 Depth=1
	s_or_b64 exec, exec, s[14:15]
	s_waitcnt lgkmcnt(0)
	v_readfirstlane_b32 s14, v11
	v_add_u32_e32 v10, s14, v10
	s_or_b64 s[12:13], s[12:13], exec
	s_or_b64 exec, exec, s[10:11]
	s_and_saveexec_b64 s[10:11], s[12:13]
	s_cbranch_execnz .LBB5_154
	s_branch .LBB5_155
.LBB5_262:                              ;   in Loop: Header=BB5_139 Depth=1
	v_cmp_eq_u32_e32 vcc, v14, v23
	s_mov_b64 s[14:15], 0
                                        ; implicit-def: $vgpr32
	s_and_saveexec_b64 s[12:13], vcc
	s_cbranch_execz .LBB5_268
; %bb.263:                              ;   in Loop: Header=BB5_139 Depth=1
	s_mov_b64 s[16:17], exec
	v_mbcnt_lo_u32_b32 v14, s16, 0
	v_mbcnt_hi_u32_b32 v14, s17, v14
	v_cmp_eq_u32_e32 vcc, 0, v14
                                        ; implicit-def: $vgpr32
	s_and_saveexec_b64 s[14:15], vcc
	s_cbranch_execz .LBB5_265
; %bb.264:                              ;   in Loop: Header=BB5_139 Depth=1
	s_bcnt1_i32_b64 s16, s[16:17]
	v_mov_b32_e32 v32, s16
	ds_add_rtn_u32 v32, v3, v32 offset:512
.LBB5_265:                              ;   in Loop: Header=BB5_139 Depth=1
	s_or_b64 exec, exec, s[14:15]
	s_waitcnt lgkmcnt(0)
	v_readfirstlane_b32 s14, v32
	v_add_u32_e32 v14, s14, v14
	v_cmp_lt_i32_e32 vcc, v14, v22
	s_mov_b64 s[14:15], 0
                                        ; implicit-def: $vgpr32
	s_and_saveexec_b64 s[16:17], vcc
; %bb.266:                              ;   in Loop: Header=BB5_139 Depth=1
	s_mov_b64 s[14:15], exec
	v_xad_u32 v32, v14, -1, v9
; %bb.267:                              ;   in Loop: Header=BB5_139 Depth=1
	s_or_b64 exec, exec, s[16:17]
	s_and_b64 s[14:15], s[14:15], exec
.LBB5_268:                              ;   in Loop: Header=BB5_139 Depth=1
	s_or_b64 exec, exec, s[12:13]
	s_and_b64 s[12:13], s[14:15], exec
	s_andn2_saveexec_b64 s[10:11], s[10:11]
	s_cbranch_execz .LBB5_171
.LBB5_269:                              ;   in Loop: Header=BB5_139 Depth=1
	s_mov_b64 s[16:17], exec
	v_mbcnt_lo_u32_b32 v14, s16, 0
	v_mbcnt_hi_u32_b32 v14, s17, v14
	v_cmp_eq_u32_e32 vcc, 0, v14
                                        ; implicit-def: $vgpr32
	s_and_saveexec_b64 s[14:15], vcc
	s_cbranch_execz .LBB5_271
; %bb.270:                              ;   in Loop: Header=BB5_139 Depth=1
	s_bcnt1_i32_b64 s16, s[16:17]
	v_mov_b32_e32 v32, s16
	ds_add_rtn_u32 v32, v3, v32 offset:384
.LBB5_271:                              ;   in Loop: Header=BB5_139 Depth=1
	s_or_b64 exec, exec, s[14:15]
	s_waitcnt lgkmcnt(0)
	v_readfirstlane_b32 s14, v32
	v_add_u32_e32 v32, s14, v14
	s_or_b64 s[12:13], s[12:13], exec
	s_or_b64 exec, exec, s[10:11]
	s_and_saveexec_b64 s[10:11], s[12:13]
	s_cbranch_execnz .LBB5_172
	s_branch .LBB5_173
.LBB5_272:                              ;   in Loop: Header=BB5_139 Depth=1
	v_cmp_eq_u32_e32 vcc, v15, v23
	s_mov_b64 s[14:15], 0
                                        ; implicit-def: $vgpr14
	s_and_saveexec_b64 s[12:13], vcc
	s_cbranch_execz .LBB5_278
; %bb.273:                              ;   in Loop: Header=BB5_139 Depth=1
	s_mov_b64 s[16:17], exec
	v_mbcnt_lo_u32_b32 v14, s16, 0
	v_mbcnt_hi_u32_b32 v14, s17, v14
	v_cmp_eq_u32_e32 vcc, 0, v14
                                        ; implicit-def: $vgpr15
	s_and_saveexec_b64 s[14:15], vcc
	s_cbranch_execz .LBB5_275
; %bb.274:                              ;   in Loop: Header=BB5_139 Depth=1
	s_bcnt1_i32_b64 s16, s[16:17]
	v_mov_b32_e32 v15, s16
	ds_add_rtn_u32 v15, v3, v15 offset:512
.LBB5_275:                              ;   in Loop: Header=BB5_139 Depth=1
	s_or_b64 exec, exec, s[14:15]
	s_waitcnt lgkmcnt(0)
	v_readfirstlane_b32 s14, v15
	v_add_u32_e32 v15, s14, v14
	v_cmp_lt_i32_e32 vcc, v15, v22
	s_mov_b64 s[14:15], 0
                                        ; implicit-def: $vgpr14
	s_and_saveexec_b64 s[16:17], vcc
; %bb.276:                              ;   in Loop: Header=BB5_139 Depth=1
	s_mov_b64 s[14:15], exec
	v_xad_u32 v14, v15, -1, v9
; %bb.277:                              ;   in Loop: Header=BB5_139 Depth=1
	s_or_b64 exec, exec, s[16:17]
	s_and_b64 s[14:15], s[14:15], exec
.LBB5_278:                              ;   in Loop: Header=BB5_139 Depth=1
	s_or_b64 exec, exec, s[12:13]
	s_and_b64 s[12:13], s[14:15], exec
	s_andn2_saveexec_b64 s[10:11], s[10:11]
	s_cbranch_execz .LBB5_175
.LBB5_279:                              ;   in Loop: Header=BB5_139 Depth=1
	s_mov_b64 s[16:17], exec
	v_mbcnt_lo_u32_b32 v14, s16, 0
	v_mbcnt_hi_u32_b32 v14, s17, v14
	v_cmp_eq_u32_e32 vcc, 0, v14
                                        ; implicit-def: $vgpr15
	s_and_saveexec_b64 s[14:15], vcc
	s_cbranch_execz .LBB5_281
; %bb.280:                              ;   in Loop: Header=BB5_139 Depth=1
	s_bcnt1_i32_b64 s16, s[16:17]
	v_mov_b32_e32 v15, s16
	ds_add_rtn_u32 v15, v3, v15 offset:384
.LBB5_281:                              ;   in Loop: Header=BB5_139 Depth=1
	s_or_b64 exec, exec, s[14:15]
	s_waitcnt lgkmcnt(0)
	v_readfirstlane_b32 s14, v15
	v_add_u32_e32 v14, s14, v14
	s_or_b64 s[12:13], s[12:13], exec
	s_or_b64 exec, exec, s[10:11]
	s_and_saveexec_b64 s[10:11], s[12:13]
	s_cbranch_execnz .LBB5_176
	s_branch .LBB5_177
.LBB5_282:                              ;   in Loop: Header=BB5_139 Depth=1
	v_cmp_eq_u32_e32 vcc, v15, v23
	s_mov_b64 s[14:15], 0
                                        ; implicit-def: $vgpr14
	s_and_saveexec_b64 s[12:13], vcc
	s_cbranch_execz .LBB5_288
; %bb.283:                              ;   in Loop: Header=BB5_139 Depth=1
	s_mov_b64 s[16:17], exec
	v_mbcnt_lo_u32_b32 v14, s16, 0
	v_mbcnt_hi_u32_b32 v14, s17, v14
	v_cmp_eq_u32_e32 vcc, 0, v14
                                        ; implicit-def: $vgpr15
	s_and_saveexec_b64 s[14:15], vcc
	s_cbranch_execz .LBB5_285
; %bb.284:                              ;   in Loop: Header=BB5_139 Depth=1
	s_bcnt1_i32_b64 s16, s[16:17]
	v_mov_b32_e32 v15, s16
	ds_add_rtn_u32 v15, v3, v15 offset:512
.LBB5_285:                              ;   in Loop: Header=BB5_139 Depth=1
	s_or_b64 exec, exec, s[14:15]
	s_waitcnt lgkmcnt(0)
	v_readfirstlane_b32 s14, v15
	v_add_u32_e32 v15, s14, v14
	v_cmp_lt_i32_e32 vcc, v15, v22
	s_mov_b64 s[14:15], 0
                                        ; implicit-def: $vgpr14
	s_and_saveexec_b64 s[16:17], vcc
; %bb.286:                              ;   in Loop: Header=BB5_139 Depth=1
	s_mov_b64 s[14:15], exec
	v_xad_u32 v14, v15, -1, v9
; %bb.287:                              ;   in Loop: Header=BB5_139 Depth=1
	s_or_b64 exec, exec, s[16:17]
	s_and_b64 s[14:15], s[14:15], exec
.LBB5_288:                              ;   in Loop: Header=BB5_139 Depth=1
	s_or_b64 exec, exec, s[12:13]
	s_and_b64 s[12:13], s[14:15], exec
	s_andn2_saveexec_b64 s[10:11], s[10:11]
	s_cbranch_execz .LBB5_179
.LBB5_289:                              ;   in Loop: Header=BB5_139 Depth=1
	s_mov_b64 s[16:17], exec
	v_mbcnt_lo_u32_b32 v14, s16, 0
	v_mbcnt_hi_u32_b32 v14, s17, v14
	v_cmp_eq_u32_e32 vcc, 0, v14
                                        ; implicit-def: $vgpr15
	s_and_saveexec_b64 s[14:15], vcc
	s_cbranch_execz .LBB5_291
; %bb.290:                              ;   in Loop: Header=BB5_139 Depth=1
	s_bcnt1_i32_b64 s16, s[16:17]
	v_mov_b32_e32 v15, s16
	ds_add_rtn_u32 v15, v3, v15 offset:384
.LBB5_291:                              ;   in Loop: Header=BB5_139 Depth=1
	s_or_b64 exec, exec, s[14:15]
	s_waitcnt lgkmcnt(0)
	v_readfirstlane_b32 s14, v15
	v_add_u32_e32 v14, s14, v14
	s_or_b64 s[12:13], s[12:13], exec
	s_or_b64 exec, exec, s[10:11]
	s_and_saveexec_b64 s[10:11], s[12:13]
	s_cbranch_execnz .LBB5_180
	s_branch .LBB5_181
.LBB5_292:                              ;   in Loop: Header=BB5_139 Depth=1
	v_cmp_eq_u32_e32 vcc, v15, v23
	s_mov_b64 s[14:15], 0
                                        ; implicit-def: $vgpr14
	s_and_saveexec_b64 s[12:13], vcc
	s_cbranch_execz .LBB5_298
; %bb.293:                              ;   in Loop: Header=BB5_139 Depth=1
	s_mov_b64 s[16:17], exec
	v_mbcnt_lo_u32_b32 v14, s16, 0
	v_mbcnt_hi_u32_b32 v14, s17, v14
	v_cmp_eq_u32_e32 vcc, 0, v14
                                        ; implicit-def: $vgpr15
	s_and_saveexec_b64 s[14:15], vcc
	s_cbranch_execz .LBB5_295
; %bb.294:                              ;   in Loop: Header=BB5_139 Depth=1
	s_bcnt1_i32_b64 s16, s[16:17]
	v_mov_b32_e32 v15, s16
	ds_add_rtn_u32 v15, v3, v15 offset:512
.LBB5_295:                              ;   in Loop: Header=BB5_139 Depth=1
	s_or_b64 exec, exec, s[14:15]
	s_waitcnt lgkmcnt(0)
	v_readfirstlane_b32 s14, v15
	v_add_u32_e32 v15, s14, v14
	v_cmp_lt_i32_e32 vcc, v15, v22
	s_mov_b64 s[14:15], 0
                                        ; implicit-def: $vgpr14
	s_and_saveexec_b64 s[16:17], vcc
; %bb.296:                              ;   in Loop: Header=BB5_139 Depth=1
	s_mov_b64 s[14:15], exec
	v_xad_u32 v14, v15, -1, v9
; %bb.297:                              ;   in Loop: Header=BB5_139 Depth=1
	s_or_b64 exec, exec, s[16:17]
	s_and_b64 s[14:15], s[14:15], exec
.LBB5_298:                              ;   in Loop: Header=BB5_139 Depth=1
	s_or_b64 exec, exec, s[12:13]
	s_and_b64 s[12:13], s[14:15], exec
	s_andn2_saveexec_b64 s[10:11], s[10:11]
	s_cbranch_execz .LBB5_197
.LBB5_299:                              ;   in Loop: Header=BB5_139 Depth=1
	s_mov_b64 s[16:17], exec
	v_mbcnt_lo_u32_b32 v14, s16, 0
	v_mbcnt_hi_u32_b32 v14, s17, v14
	v_cmp_eq_u32_e32 vcc, 0, v14
                                        ; implicit-def: $vgpr15
	s_and_saveexec_b64 s[14:15], vcc
	s_cbranch_execz .LBB5_301
; %bb.300:                              ;   in Loop: Header=BB5_139 Depth=1
	s_bcnt1_i32_b64 s16, s[16:17]
	v_mov_b32_e32 v15, s16
	ds_add_rtn_u32 v15, v3, v15 offset:384
.LBB5_301:                              ;   in Loop: Header=BB5_139 Depth=1
	s_or_b64 exec, exec, s[14:15]
	s_waitcnt lgkmcnt(0)
	v_readfirstlane_b32 s14, v15
	v_add_u32_e32 v14, s14, v14
	s_or_b64 s[12:13], s[12:13], exec
	s_or_b64 exec, exec, s[10:11]
	s_and_saveexec_b64 s[10:11], s[12:13]
	s_cbranch_execnz .LBB5_198
	s_branch .LBB5_199
.LBB5_302:                              ;   in Loop: Header=BB5_139 Depth=1
	v_cmp_eq_u32_e32 vcc, v15, v23
	s_mov_b64 s[14:15], 0
                                        ; implicit-def: $vgpr14
	s_and_saveexec_b64 s[12:13], vcc
	s_cbranch_execz .LBB5_308
; %bb.303:                              ;   in Loop: Header=BB5_139 Depth=1
	s_mov_b64 s[16:17], exec
	v_mbcnt_lo_u32_b32 v14, s16, 0
	v_mbcnt_hi_u32_b32 v14, s17, v14
	v_cmp_eq_u32_e32 vcc, 0, v14
                                        ; implicit-def: $vgpr15
	s_and_saveexec_b64 s[14:15], vcc
	s_cbranch_execz .LBB5_305
; %bb.304:                              ;   in Loop: Header=BB5_139 Depth=1
	s_bcnt1_i32_b64 s16, s[16:17]
	v_mov_b32_e32 v15, s16
	ds_add_rtn_u32 v15, v3, v15 offset:512
.LBB5_305:                              ;   in Loop: Header=BB5_139 Depth=1
	s_or_b64 exec, exec, s[14:15]
	s_waitcnt lgkmcnt(0)
	v_readfirstlane_b32 s14, v15
	v_add_u32_e32 v15, s14, v14
	v_cmp_lt_i32_e32 vcc, v15, v22
	s_mov_b64 s[14:15], 0
                                        ; implicit-def: $vgpr14
	s_and_saveexec_b64 s[16:17], vcc
; %bb.306:                              ;   in Loop: Header=BB5_139 Depth=1
	s_mov_b64 s[14:15], exec
	v_xad_u32 v14, v15, -1, v9
; %bb.307:                              ;   in Loop: Header=BB5_139 Depth=1
	s_or_b64 exec, exec, s[16:17]
	s_and_b64 s[14:15], s[14:15], exec
.LBB5_308:                              ;   in Loop: Header=BB5_139 Depth=1
	s_or_b64 exec, exec, s[12:13]
	s_and_b64 s[12:13], s[14:15], exec
	s_andn2_saveexec_b64 s[10:11], s[10:11]
	s_cbranch_execz .LBB5_201
.LBB5_309:                              ;   in Loop: Header=BB5_139 Depth=1
	s_mov_b64 s[16:17], exec
	v_mbcnt_lo_u32_b32 v14, s16, 0
	v_mbcnt_hi_u32_b32 v14, s17, v14
	v_cmp_eq_u32_e32 vcc, 0, v14
                                        ; implicit-def: $vgpr15
	s_and_saveexec_b64 s[14:15], vcc
	s_cbranch_execz .LBB5_311
; %bb.310:                              ;   in Loop: Header=BB5_139 Depth=1
	s_bcnt1_i32_b64 s16, s[16:17]
	v_mov_b32_e32 v15, s16
	ds_add_rtn_u32 v15, v3, v15 offset:384
.LBB5_311:                              ;   in Loop: Header=BB5_139 Depth=1
	s_or_b64 exec, exec, s[14:15]
	s_waitcnt lgkmcnt(0)
	v_readfirstlane_b32 s14, v15
	v_add_u32_e32 v14, s14, v14
	s_or_b64 s[12:13], s[12:13], exec
	s_or_b64 exec, exec, s[10:11]
	s_and_saveexec_b64 s[10:11], s[12:13]
	s_cbranch_execnz .LBB5_202
	s_branch .LBB5_203
.LBB5_312:                              ;   in Loop: Header=BB5_139 Depth=1
	v_cmp_eq_u32_e32 vcc, v15, v23
	s_mov_b64 s[14:15], 0
                                        ; implicit-def: $vgpr14
	s_and_saveexec_b64 s[12:13], vcc
	s_cbranch_execz .LBB5_318
; %bb.313:                              ;   in Loop: Header=BB5_139 Depth=1
	s_mov_b64 s[16:17], exec
	v_mbcnt_lo_u32_b32 v14, s16, 0
	v_mbcnt_hi_u32_b32 v14, s17, v14
	v_cmp_eq_u32_e32 vcc, 0, v14
                                        ; implicit-def: $vgpr15
	s_and_saveexec_b64 s[14:15], vcc
	s_cbranch_execz .LBB5_315
; %bb.314:                              ;   in Loop: Header=BB5_139 Depth=1
	s_bcnt1_i32_b64 s16, s[16:17]
	v_mov_b32_e32 v15, s16
	ds_add_rtn_u32 v15, v3, v15 offset:512
.LBB5_315:                              ;   in Loop: Header=BB5_139 Depth=1
	s_or_b64 exec, exec, s[14:15]
	s_waitcnt lgkmcnt(0)
	v_readfirstlane_b32 s14, v15
	v_add_u32_e32 v15, s14, v14
	v_cmp_lt_i32_e32 vcc, v15, v22
	s_mov_b64 s[14:15], 0
                                        ; implicit-def: $vgpr14
	s_and_saveexec_b64 s[16:17], vcc
; %bb.316:                              ;   in Loop: Header=BB5_139 Depth=1
	s_mov_b64 s[14:15], exec
	v_xad_u32 v14, v15, -1, v9
; %bb.317:                              ;   in Loop: Header=BB5_139 Depth=1
	s_or_b64 exec, exec, s[16:17]
	s_and_b64 s[14:15], s[14:15], exec
.LBB5_318:                              ;   in Loop: Header=BB5_139 Depth=1
	s_or_b64 exec, exec, s[12:13]
	s_and_b64 s[12:13], s[14:15], exec
	s_andn2_saveexec_b64 s[10:11], s[10:11]
	s_cbranch_execz .LBB5_205
.LBB5_319:                              ;   in Loop: Header=BB5_139 Depth=1
	s_mov_b64 s[16:17], exec
	v_mbcnt_lo_u32_b32 v14, s16, 0
	v_mbcnt_hi_u32_b32 v14, s17, v14
	v_cmp_eq_u32_e32 vcc, 0, v14
                                        ; implicit-def: $vgpr15
	s_and_saveexec_b64 s[14:15], vcc
	s_cbranch_execz .LBB5_321
; %bb.320:                              ;   in Loop: Header=BB5_139 Depth=1
	s_bcnt1_i32_b64 s16, s[16:17]
	v_mov_b32_e32 v15, s16
	ds_add_rtn_u32 v15, v3, v15 offset:384
.LBB5_321:                              ;   in Loop: Header=BB5_139 Depth=1
	s_or_b64 exec, exec, s[14:15]
	s_waitcnt lgkmcnt(0)
	v_readfirstlane_b32 s14, v15
	v_add_u32_e32 v14, s14, v14
	s_or_b64 s[12:13], s[12:13], exec
	s_or_b64 exec, exec, s[10:11]
	s_and_saveexec_b64 s[10:11], s[12:13]
	s_cbranch_execnz .LBB5_206
	s_branch .LBB5_207
.LBB5_322:                              ;   in Loop: Header=BB5_139 Depth=1
	v_cmp_eq_u32_e32 vcc, v15, v23
	s_mov_b64 s[14:15], 0
                                        ; implicit-def: $vgpr14
	s_and_saveexec_b64 s[12:13], vcc
	s_cbranch_execz .LBB5_328
; %bb.323:                              ;   in Loop: Header=BB5_139 Depth=1
	s_mov_b64 s[16:17], exec
	v_mbcnt_lo_u32_b32 v14, s16, 0
	v_mbcnt_hi_u32_b32 v14, s17, v14
	v_cmp_eq_u32_e32 vcc, 0, v14
                                        ; implicit-def: $vgpr15
	s_and_saveexec_b64 s[14:15], vcc
	s_cbranch_execz .LBB5_325
; %bb.324:                              ;   in Loop: Header=BB5_139 Depth=1
	s_bcnt1_i32_b64 s16, s[16:17]
	v_mov_b32_e32 v15, s16
	ds_add_rtn_u32 v15, v3, v15 offset:512
.LBB5_325:                              ;   in Loop: Header=BB5_139 Depth=1
	s_or_b64 exec, exec, s[14:15]
	s_waitcnt lgkmcnt(0)
	v_readfirstlane_b32 s14, v15
	v_add_u32_e32 v15, s14, v14
	v_cmp_lt_i32_e32 vcc, v15, v22
	s_mov_b64 s[14:15], 0
                                        ; implicit-def: $vgpr14
	s_and_saveexec_b64 s[16:17], vcc
	s_xor_b64 s[16:17], exec, s[16:17]
; %bb.326:                              ;   in Loop: Header=BB5_139 Depth=1
	s_mov_b64 s[14:15], exec
	v_xad_u32 v14, v15, -1, v9
; %bb.327:                              ;   in Loop: Header=BB5_139 Depth=1
	s_or_b64 exec, exec, s[16:17]
	s_and_b64 s[14:15], s[14:15], exec
.LBB5_328:                              ;   in Loop: Header=BB5_139 Depth=1
	s_or_b64 exec, exec, s[12:13]
	s_and_b64 s[12:13], s[14:15], exec
	s_andn2_saveexec_b64 s[10:11], s[10:11]
	s_cbranch_execz .LBB5_209
.LBB5_329:                              ;   in Loop: Header=BB5_139 Depth=1
	s_mov_b64 s[16:17], exec
	v_mbcnt_lo_u32_b32 v14, s16, 0
	v_mbcnt_hi_u32_b32 v14, s17, v14
	v_cmp_eq_u32_e32 vcc, 0, v14
                                        ; implicit-def: $vgpr15
	s_and_saveexec_b64 s[14:15], vcc
	s_cbranch_execz .LBB5_331
; %bb.330:                              ;   in Loop: Header=BB5_139 Depth=1
	s_bcnt1_i32_b64 s16, s[16:17]
	v_mov_b32_e32 v15, s16
	ds_add_rtn_u32 v15, v3, v15 offset:384
.LBB5_331:                              ;   in Loop: Header=BB5_139 Depth=1
	s_or_b64 exec, exec, s[14:15]
	s_waitcnt lgkmcnt(0)
	v_readfirstlane_b32 s14, v15
	v_add_u32_e32 v14, s14, v14
	s_or_b64 s[12:13], s[12:13], exec
	s_or_b64 exec, exec, s[10:11]
	v_lshl_add_u32 v16, v30, 2, v24
	s_and_saveexec_b64 s[10:11], s[12:13]
	s_cbranch_execnz .LBB5_210
	s_branch .LBB5_211
.LBB5_332:                              ;   in Loop: Header=BB5_139 Depth=1
	v_cmp_eq_u32_e32 vcc, v10, v23
	s_mov_b64 s[14:15], 0
                                        ; implicit-def: $vgpr14
	s_and_saveexec_b64 s[12:13], vcc
	s_cbranch_execz .LBB5_338
; %bb.333:                              ;   in Loop: Header=BB5_139 Depth=1
	s_mov_b64 s[16:17], exec
	v_mbcnt_lo_u32_b32 v10, s16, 0
	v_mbcnt_hi_u32_b32 v10, s17, v10
	v_cmp_eq_u32_e32 vcc, 0, v10
                                        ; implicit-def: $vgpr14
	s_and_saveexec_b64 s[14:15], vcc
	s_cbranch_execz .LBB5_335
; %bb.334:                              ;   in Loop: Header=BB5_139 Depth=1
	s_bcnt1_i32_b64 s16, s[16:17]
	v_mov_b32_e32 v14, s16
	ds_add_rtn_u32 v14, v3, v14 offset:512
.LBB5_335:                              ;   in Loop: Header=BB5_139 Depth=1
	s_or_b64 exec, exec, s[14:15]
	s_waitcnt lgkmcnt(0)
	v_readfirstlane_b32 s14, v14
	v_add_u32_e32 v10, s14, v10
	v_cmp_lt_i32_e32 vcc, v10, v22
	s_mov_b64 s[14:15], 0
                                        ; implicit-def: $vgpr14
	s_and_saveexec_b64 s[16:17], vcc
; %bb.336:                              ;   in Loop: Header=BB5_139 Depth=1
	s_mov_b64 s[14:15], exec
	v_xad_u32 v14, v10, -1, v9
; %bb.337:                              ;   in Loop: Header=BB5_139 Depth=1
	s_or_b64 exec, exec, s[16:17]
	s_and_b64 s[14:15], s[14:15], exec
.LBB5_338:                              ;   in Loop: Header=BB5_139 Depth=1
	s_or_b64 exec, exec, s[12:13]
	s_and_b64 s[12:13], s[14:15], exec
	s_andn2_saveexec_b64 s[10:11], s[10:11]
	s_cbranch_execz .LBB5_213
.LBB5_339:                              ;   in Loop: Header=BB5_139 Depth=1
	s_mov_b64 s[16:17], exec
	v_mbcnt_lo_u32_b32 v10, s16, 0
	v_mbcnt_hi_u32_b32 v10, s17, v10
	v_cmp_eq_u32_e32 vcc, 0, v10
                                        ; implicit-def: $vgpr14
	s_and_saveexec_b64 s[14:15], vcc
	s_cbranch_execz .LBB5_341
; %bb.340:                              ;   in Loop: Header=BB5_139 Depth=1
	s_bcnt1_i32_b64 s16, s[16:17]
	v_mov_b32_e32 v14, s16
	ds_add_rtn_u32 v14, v3, v14 offset:384
.LBB5_341:                              ;   in Loop: Header=BB5_139 Depth=1
	s_or_b64 exec, exec, s[14:15]
	s_waitcnt lgkmcnt(0)
	v_readfirstlane_b32 s14, v14
	v_add_u32_e32 v14, s14, v10
	s_or_b64 s[12:13], s[12:13], exec
	s_or_b64 exec, exec, s[10:11]
	s_and_saveexec_b64 s[10:11], s[12:13]
	s_cbranch_execnz .LBB5_214
	s_branch .LBB5_215
.LBB5_342:                              ;   in Loop: Header=BB5_139 Depth=1
	v_cmp_eq_u32_e32 vcc, v11, v23
	s_mov_b64 s[14:15], 0
                                        ; implicit-def: $vgpr10
	s_and_saveexec_b64 s[12:13], vcc
	s_cbranch_execz .LBB5_348
; %bb.343:                              ;   in Loop: Header=BB5_139 Depth=1
	s_mov_b64 s[16:17], exec
	v_mbcnt_lo_u32_b32 v10, s16, 0
	v_mbcnt_hi_u32_b32 v10, s17, v10
	v_cmp_eq_u32_e32 vcc, 0, v10
                                        ; implicit-def: $vgpr11
	s_and_saveexec_b64 s[14:15], vcc
	s_cbranch_execz .LBB5_345
; %bb.344:                              ;   in Loop: Header=BB5_139 Depth=1
	s_bcnt1_i32_b64 s16, s[16:17]
	v_mov_b32_e32 v11, s16
	ds_add_rtn_u32 v11, v3, v11 offset:512
.LBB5_345:                              ;   in Loop: Header=BB5_139 Depth=1
	s_or_b64 exec, exec, s[14:15]
	s_waitcnt lgkmcnt(0)
	v_readfirstlane_b32 s14, v11
	v_add_u32_e32 v11, s14, v10
	v_cmp_lt_i32_e32 vcc, v11, v22
	s_mov_b64 s[14:15], 0
                                        ; implicit-def: $vgpr10
	s_and_saveexec_b64 s[16:17], vcc
; %bb.346:                              ;   in Loop: Header=BB5_139 Depth=1
	s_mov_b64 s[14:15], exec
	v_xad_u32 v10, v11, -1, v9
; %bb.347:                              ;   in Loop: Header=BB5_139 Depth=1
	s_or_b64 exec, exec, s[16:17]
	s_and_b64 s[14:15], s[14:15], exec
.LBB5_348:                              ;   in Loop: Header=BB5_139 Depth=1
	s_or_b64 exec, exec, s[12:13]
	s_and_b64 s[12:13], s[14:15], exec
	s_andn2_saveexec_b64 s[10:11], s[10:11]
	s_cbranch_execz .LBB5_217
.LBB5_349:                              ;   in Loop: Header=BB5_139 Depth=1
	s_mov_b64 s[16:17], exec
	v_mbcnt_lo_u32_b32 v10, s16, 0
	v_mbcnt_hi_u32_b32 v10, s17, v10
	v_cmp_eq_u32_e32 vcc, 0, v10
                                        ; implicit-def: $vgpr11
	s_and_saveexec_b64 s[14:15], vcc
	s_cbranch_execz .LBB5_351
; %bb.350:                              ;   in Loop: Header=BB5_139 Depth=1
	s_bcnt1_i32_b64 s16, s[16:17]
	v_mov_b32_e32 v11, s16
	ds_add_rtn_u32 v11, v3, v11 offset:384
.LBB5_351:                              ;   in Loop: Header=BB5_139 Depth=1
	s_or_b64 exec, exec, s[14:15]
	s_waitcnt lgkmcnt(0)
	v_readfirstlane_b32 s14, v11
	v_add_u32_e32 v10, s14, v10
	s_or_b64 s[12:13], s[12:13], exec
	s_or_b64 exec, exec, s[10:11]
	s_and_saveexec_b64 s[10:11], s[12:13]
	s_cbranch_execnz .LBB5_218
	s_branch .LBB5_219
.LBB5_352:                              ;   in Loop: Header=BB5_139 Depth=1
	v_cmp_eq_u32_e32 vcc, v11, v23
	s_mov_b64 s[14:15], 0
                                        ; implicit-def: $vgpr10
	s_and_saveexec_b64 s[12:13], vcc
	s_cbranch_execz .LBB5_358
; %bb.353:                              ;   in Loop: Header=BB5_139 Depth=1
	s_mov_b64 s[16:17], exec
	v_mbcnt_lo_u32_b32 v10, s16, 0
	v_mbcnt_hi_u32_b32 v10, s17, v10
	v_cmp_eq_u32_e32 vcc, 0, v10
                                        ; implicit-def: $vgpr11
	s_and_saveexec_b64 s[14:15], vcc
	s_cbranch_execz .LBB5_355
; %bb.354:                              ;   in Loop: Header=BB5_139 Depth=1
	s_bcnt1_i32_b64 s16, s[16:17]
	v_mov_b32_e32 v11, s16
	ds_add_rtn_u32 v11, v3, v11 offset:512
.LBB5_355:                              ;   in Loop: Header=BB5_139 Depth=1
	s_or_b64 exec, exec, s[14:15]
	s_waitcnt lgkmcnt(0)
	v_readfirstlane_b32 s14, v11
	v_add_u32_e32 v11, s14, v10
	v_cmp_lt_i32_e32 vcc, v11, v22
	s_mov_b64 s[14:15], 0
                                        ; implicit-def: $vgpr10
	s_and_saveexec_b64 s[16:17], vcc
; %bb.356:                              ;   in Loop: Header=BB5_139 Depth=1
	s_mov_b64 s[14:15], exec
	v_xad_u32 v10, v11, -1, v9
; %bb.357:                              ;   in Loop: Header=BB5_139 Depth=1
	s_or_b64 exec, exec, s[16:17]
	s_and_b64 s[14:15], s[14:15], exec
.LBB5_358:                              ;   in Loop: Header=BB5_139 Depth=1
	s_or_b64 exec, exec, s[12:13]
	s_and_b64 s[12:13], s[14:15], exec
	s_andn2_saveexec_b64 s[10:11], s[10:11]
	s_cbranch_execz .LBB5_221
.LBB5_359:                              ;   in Loop: Header=BB5_139 Depth=1
	s_mov_b64 s[16:17], exec
	v_mbcnt_lo_u32_b32 v10, s16, 0
	v_mbcnt_hi_u32_b32 v10, s17, v10
	v_cmp_eq_u32_e32 vcc, 0, v10
                                        ; implicit-def: $vgpr11
	s_and_saveexec_b64 s[14:15], vcc
	s_cbranch_execz .LBB5_361
; %bb.360:                              ;   in Loop: Header=BB5_139 Depth=1
	s_bcnt1_i32_b64 s16, s[16:17]
	v_mov_b32_e32 v11, s16
	ds_add_rtn_u32 v11, v3, v11 offset:384
.LBB5_361:                              ;   in Loop: Header=BB5_139 Depth=1
	s_or_b64 exec, exec, s[14:15]
	s_waitcnt lgkmcnt(0)
	v_readfirstlane_b32 s14, v11
	v_add_u32_e32 v10, s14, v10
	s_or_b64 s[12:13], s[12:13], exec
	s_or_b64 exec, exec, s[10:11]
	s_and_saveexec_b64 s[10:11], s[12:13]
	s_cbranch_execz .LBB5_138
.LBB5_362:                              ;   in Loop: Header=BB5_139 Depth=1
	v_ashrrev_i32_e32 v11, 31, v10
	v_lshlrev_b64 v[10:11], 2, v[10:11]
	v_add_co_u32_e32 v14, vcc, v4, v10
	v_addc_co_u32_e32 v15, vcc, v5, v11, vcc
	v_add_co_u32_e32 v10, vcc, v6, v10
	v_add_u32_e32 v12, 3, v16
	v_addc_co_u32_e32 v11, vcc, v7, v11, vcc
	flat_store_dword v[14:15], v13
	flat_store_dword v[10:11], v12
	s_branch .LBB5_138
.LBB5_363:
	s_or_b64 exec, exec, s[6:7]
.LBB5_364:
	s_or_b64 exec, exec, s[8:9]
	v_cmp_lt_i32_e32 vcc, v28, v26
	s_and_saveexec_b64 s[6:7], vcc
	s_cbranch_execz .LBB5_423
; %bb.365:
	v_lshl_add_u32 v3, v28, 2, v24
	s_mov_b64 s[8:9], 0
	v_bfrev_b32_e32 v16, -2
	v_mov_b32_e32 v17, 0
	s_branch .LBB5_367
.LBB5_366:                              ;   in Loop: Header=BB5_367 Depth=1
	s_or_b64 exec, exec, s[10:11]
	v_add_u32_e32 v28, v28, v36
	v_cmp_ge_i32_e32 vcc, v28, v26
	s_or_b64 s[8:9], vcc, s[8:9]
	v_add_u32_e32 v3, v3, v37
	s_andn2_b64 exec, exec, s[8:9]
	s_cbranch_execz .LBB5_423
.LBB5_367:                              ; =>This Inner Loop Header: Depth=1
	v_ashrrev_i32_e32 v29, 31, v28
	v_lshlrev_b64 v[10:11], 4, v[28:29]
	v_add_co_u32_e32 v10, vcc, v25, v10
	v_addc_co_u32_e32 v11, vcc, v35, v11, vcc
	flat_load_dwordx4 v[10:13], v[10:11]
	s_mov_b64 s[12:13], 0
	s_waitcnt vmcnt(0) lgkmcnt(0)
	v_cmp_gt_i32_e32 vcc, 0, v10
	v_cndmask_b32_e64 v14, v16, 0, vcc
	v_xor_b32_e32 v14, v14, v10
	v_and_b32_e32 v15, v14, v34
	v_cmp_ge_u32_e32 vcc, v15, v23
                                        ; implicit-def: $vgpr14
	s_and_saveexec_b64 s[10:11], vcc
	s_xor_b64 s[10:11], exec, s[10:11]
	s_cbranch_execnz .LBB5_382
; %bb.368:                              ;   in Loop: Header=BB5_367 Depth=1
	s_andn2_saveexec_b64 s[10:11], s[10:11]
	s_cbranch_execnz .LBB5_389
.LBB5_369:                              ;   in Loop: Header=BB5_367 Depth=1
	s_or_b64 exec, exec, s[10:11]
	s_and_saveexec_b64 s[10:11], s[12:13]
	s_cbranch_execz .LBB5_371
.LBB5_370:                              ;   in Loop: Header=BB5_367 Depth=1
	v_ashrrev_i32_e32 v15, 31, v14
	v_lshlrev_b64 v[14:15], 2, v[14:15]
	v_add_co_u32_e32 v18, vcc, v4, v14
	v_addc_co_u32_e32 v19, vcc, v5, v15, vcc
	v_add_co_u32_e32 v14, vcc, v6, v14
	v_addc_co_u32_e32 v15, vcc, v7, v15, vcc
	flat_store_dword v[18:19], v10
	flat_store_dword v[14:15], v3
.LBB5_371:                              ;   in Loop: Header=BB5_367 Depth=1
	s_or_b64 exec, exec, s[10:11]
	v_cmp_gt_i32_e32 vcc, 0, v11
	v_cndmask_b32_e64 v10, v16, 0, vcc
	v_xor_b32_e32 v10, v10, v11
	v_and_b32_e32 v10, v10, v34
	v_cmp_ge_u32_e32 vcc, v10, v23
	s_mov_b64 s[12:13], 0
                                        ; implicit-def: $vgpr14
	s_and_saveexec_b64 s[10:11], vcc
	s_xor_b64 s[10:11], exec, s[10:11]
	s_cbranch_execnz .LBB5_392
; %bb.372:                              ;   in Loop: Header=BB5_367 Depth=1
	s_andn2_saveexec_b64 s[10:11], s[10:11]
	s_cbranch_execnz .LBB5_399
.LBB5_373:                              ;   in Loop: Header=BB5_367 Depth=1
	s_or_b64 exec, exec, s[10:11]
	s_and_saveexec_b64 s[10:11], s[12:13]
	s_cbranch_execz .LBB5_375
.LBB5_374:                              ;   in Loop: Header=BB5_367 Depth=1
	v_ashrrev_i32_e32 v15, 31, v14
	v_lshlrev_b64 v[14:15], 2, v[14:15]
	v_add_co_u32_e32 v18, vcc, v4, v14
	v_addc_co_u32_e32 v19, vcc, v5, v15, vcc
	v_add_co_u32_e32 v10, vcc, v6, v14
	v_add_u32_e32 v20, 1, v3
	flat_store_dword v[18:19], v11
	v_addc_co_u32_e32 v11, vcc, v7, v15, vcc
	flat_store_dword v[10:11], v20
.LBB5_375:                              ;   in Loop: Header=BB5_367 Depth=1
	s_or_b64 exec, exec, s[10:11]
	v_cmp_gt_i32_e32 vcc, 0, v12
	v_cndmask_b32_e64 v10, v16, 0, vcc
	v_xor_b32_e32 v10, v10, v12
	v_and_b32_e32 v11, v10, v34
	v_cmp_ge_u32_e32 vcc, v11, v23
	s_mov_b64 s[12:13], 0
                                        ; implicit-def: $vgpr10
	s_and_saveexec_b64 s[10:11], vcc
	s_xor_b64 s[10:11], exec, s[10:11]
	s_cbranch_execnz .LBB5_402
; %bb.376:                              ;   in Loop: Header=BB5_367 Depth=1
	s_andn2_saveexec_b64 s[10:11], s[10:11]
	s_cbranch_execnz .LBB5_409
.LBB5_377:                              ;   in Loop: Header=BB5_367 Depth=1
	s_or_b64 exec, exec, s[10:11]
	s_and_saveexec_b64 s[10:11], s[12:13]
	s_cbranch_execz .LBB5_379
.LBB5_378:                              ;   in Loop: Header=BB5_367 Depth=1
	v_ashrrev_i32_e32 v11, 31, v10
	v_lshlrev_b64 v[10:11], 2, v[10:11]
	v_add_co_u32_e32 v14, vcc, v4, v10
	v_addc_co_u32_e32 v15, vcc, v5, v11, vcc
	v_add_co_u32_e32 v10, vcc, v6, v10
	v_add_u32_e32 v18, 2, v3
	v_addc_co_u32_e32 v11, vcc, v7, v11, vcc
	flat_store_dword v[14:15], v12
	flat_store_dword v[10:11], v18
.LBB5_379:                              ;   in Loop: Header=BB5_367 Depth=1
	s_or_b64 exec, exec, s[10:11]
	v_cmp_gt_i32_e32 vcc, 0, v13
	v_cndmask_b32_e64 v10, v16, 0, vcc
	v_xor_b32_e32 v10, v10, v13
	v_and_b32_e32 v11, v10, v34
	v_cmp_ge_u32_e32 vcc, v11, v23
	s_mov_b64 s[12:13], 0
                                        ; implicit-def: $vgpr10
	s_and_saveexec_b64 s[10:11], vcc
	s_xor_b64 s[10:11], exec, s[10:11]
	s_cbranch_execnz .LBB5_412
; %bb.380:                              ;   in Loop: Header=BB5_367 Depth=1
	s_andn2_saveexec_b64 s[10:11], s[10:11]
	s_cbranch_execnz .LBB5_419
.LBB5_381:                              ;   in Loop: Header=BB5_367 Depth=1
	s_or_b64 exec, exec, s[10:11]
	s_and_saveexec_b64 s[10:11], s[12:13]
	s_cbranch_execz .LBB5_366
	s_branch .LBB5_422
.LBB5_382:                              ;   in Loop: Header=BB5_367 Depth=1
	v_cmp_eq_u32_e32 vcc, v15, v23
	s_mov_b64 s[14:15], 0
                                        ; implicit-def: $vgpr14
	s_and_saveexec_b64 s[12:13], vcc
	s_cbranch_execz .LBB5_388
; %bb.383:                              ;   in Loop: Header=BB5_367 Depth=1
	s_mov_b64 s[16:17], exec
	v_mbcnt_lo_u32_b32 v14, s16, 0
	v_mbcnt_hi_u32_b32 v14, s17, v14
	v_cmp_eq_u32_e32 vcc, 0, v14
                                        ; implicit-def: $vgpr15
	s_and_saveexec_b64 s[14:15], vcc
	s_cbranch_execz .LBB5_385
; %bb.384:                              ;   in Loop: Header=BB5_367 Depth=1
	s_bcnt1_i32_b64 s16, s[16:17]
	v_mov_b32_e32 v15, s16
	ds_add_rtn_u32 v15, v17, v15 offset:512
.LBB5_385:                              ;   in Loop: Header=BB5_367 Depth=1
	s_or_b64 exec, exec, s[14:15]
	s_waitcnt lgkmcnt(0)
	v_readfirstlane_b32 s14, v15
	v_add_u32_e32 v15, s14, v14
	v_cmp_lt_i32_e32 vcc, v15, v22
	s_mov_b64 s[14:15], 0
                                        ; implicit-def: $vgpr14
	s_and_saveexec_b64 s[16:17], vcc
	s_xor_b64 s[16:17], exec, s[16:17]
; %bb.386:                              ;   in Loop: Header=BB5_367 Depth=1
	s_mov_b64 s[14:15], exec
	v_xad_u32 v14, v15, -1, v9
; %bb.387:                              ;   in Loop: Header=BB5_367 Depth=1
	s_or_b64 exec, exec, s[16:17]
	s_and_b64 s[14:15], s[14:15], exec
.LBB5_388:                              ;   in Loop: Header=BB5_367 Depth=1
	s_or_b64 exec, exec, s[12:13]
	s_and_b64 s[12:13], s[14:15], exec
	s_andn2_saveexec_b64 s[10:11], s[10:11]
	s_cbranch_execz .LBB5_369
.LBB5_389:                              ;   in Loop: Header=BB5_367 Depth=1
	s_mov_b64 s[16:17], exec
	v_mbcnt_lo_u32_b32 v14, s16, 0
	v_mbcnt_hi_u32_b32 v14, s17, v14
	v_cmp_eq_u32_e32 vcc, 0, v14
                                        ; implicit-def: $vgpr15
	s_and_saveexec_b64 s[14:15], vcc
	s_cbranch_execz .LBB5_391
; %bb.390:                              ;   in Loop: Header=BB5_367 Depth=1
	s_bcnt1_i32_b64 s16, s[16:17]
	v_mov_b32_e32 v15, s16
	ds_add_rtn_u32 v15, v17, v15 offset:384
.LBB5_391:                              ;   in Loop: Header=BB5_367 Depth=1
	s_or_b64 exec, exec, s[14:15]
	s_waitcnt lgkmcnt(0)
	v_readfirstlane_b32 s14, v15
	v_add_u32_e32 v14, s14, v14
	s_or_b64 s[12:13], s[12:13], exec
	s_or_b64 exec, exec, s[10:11]
	s_and_saveexec_b64 s[10:11], s[12:13]
	s_cbranch_execnz .LBB5_370
	s_branch .LBB5_371
.LBB5_392:                              ;   in Loop: Header=BB5_367 Depth=1
	v_cmp_eq_u32_e32 vcc, v10, v23
	s_mov_b64 s[14:15], 0
                                        ; implicit-def: $vgpr14
	s_and_saveexec_b64 s[12:13], vcc
	s_cbranch_execz .LBB5_398
; %bb.393:                              ;   in Loop: Header=BB5_367 Depth=1
	s_mov_b64 s[16:17], exec
	v_mbcnt_lo_u32_b32 v10, s16, 0
	v_mbcnt_hi_u32_b32 v10, s17, v10
	v_cmp_eq_u32_e32 vcc, 0, v10
                                        ; implicit-def: $vgpr14
	s_and_saveexec_b64 s[14:15], vcc
	s_cbranch_execz .LBB5_395
; %bb.394:                              ;   in Loop: Header=BB5_367 Depth=1
	s_bcnt1_i32_b64 s16, s[16:17]
	v_mov_b32_e32 v14, s16
	ds_add_rtn_u32 v14, v17, v14 offset:512
.LBB5_395:                              ;   in Loop: Header=BB5_367 Depth=1
	s_or_b64 exec, exec, s[14:15]
	s_waitcnt lgkmcnt(0)
	v_readfirstlane_b32 s14, v14
	v_add_u32_e32 v10, s14, v10
	v_cmp_lt_i32_e32 vcc, v10, v22
	s_mov_b64 s[14:15], 0
                                        ; implicit-def: $vgpr14
	s_and_saveexec_b64 s[16:17], vcc
; %bb.396:                              ;   in Loop: Header=BB5_367 Depth=1
	s_mov_b64 s[14:15], exec
	v_xad_u32 v14, v10, -1, v9
; %bb.397:                              ;   in Loop: Header=BB5_367 Depth=1
	s_or_b64 exec, exec, s[16:17]
	s_and_b64 s[14:15], s[14:15], exec
.LBB5_398:                              ;   in Loop: Header=BB5_367 Depth=1
	s_or_b64 exec, exec, s[12:13]
	s_and_b64 s[12:13], s[14:15], exec
	s_andn2_saveexec_b64 s[10:11], s[10:11]
	s_cbranch_execz .LBB5_373
.LBB5_399:                              ;   in Loop: Header=BB5_367 Depth=1
	s_mov_b64 s[16:17], exec
	v_mbcnt_lo_u32_b32 v10, s16, 0
	v_mbcnt_hi_u32_b32 v10, s17, v10
	v_cmp_eq_u32_e32 vcc, 0, v10
                                        ; implicit-def: $vgpr14
	s_and_saveexec_b64 s[14:15], vcc
	s_cbranch_execz .LBB5_401
; %bb.400:                              ;   in Loop: Header=BB5_367 Depth=1
	s_bcnt1_i32_b64 s16, s[16:17]
	v_mov_b32_e32 v14, s16
	ds_add_rtn_u32 v14, v17, v14 offset:384
.LBB5_401:                              ;   in Loop: Header=BB5_367 Depth=1
	s_or_b64 exec, exec, s[14:15]
	s_waitcnt lgkmcnt(0)
	v_readfirstlane_b32 s14, v14
	v_add_u32_e32 v14, s14, v10
	s_or_b64 s[12:13], s[12:13], exec
	s_or_b64 exec, exec, s[10:11]
	s_and_saveexec_b64 s[10:11], s[12:13]
	s_cbranch_execnz .LBB5_374
	s_branch .LBB5_375
.LBB5_402:                              ;   in Loop: Header=BB5_367 Depth=1
	v_cmp_eq_u32_e32 vcc, v11, v23
	s_mov_b64 s[14:15], 0
                                        ; implicit-def: $vgpr10
	s_and_saveexec_b64 s[12:13], vcc
	s_cbranch_execz .LBB5_408
; %bb.403:                              ;   in Loop: Header=BB5_367 Depth=1
	s_mov_b64 s[16:17], exec
	v_mbcnt_lo_u32_b32 v10, s16, 0
	v_mbcnt_hi_u32_b32 v10, s17, v10
	v_cmp_eq_u32_e32 vcc, 0, v10
                                        ; implicit-def: $vgpr11
	s_and_saveexec_b64 s[14:15], vcc
	s_cbranch_execz .LBB5_405
; %bb.404:                              ;   in Loop: Header=BB5_367 Depth=1
	s_bcnt1_i32_b64 s16, s[16:17]
	v_mov_b32_e32 v11, s16
	ds_add_rtn_u32 v11, v17, v11 offset:512
.LBB5_405:                              ;   in Loop: Header=BB5_367 Depth=1
	s_or_b64 exec, exec, s[14:15]
	s_waitcnt lgkmcnt(0)
	v_readfirstlane_b32 s14, v11
	v_add_u32_e32 v11, s14, v10
	v_cmp_lt_i32_e32 vcc, v11, v22
	s_mov_b64 s[14:15], 0
                                        ; implicit-def: $vgpr10
	s_and_saveexec_b64 s[16:17], vcc
; %bb.406:                              ;   in Loop: Header=BB5_367 Depth=1
	s_mov_b64 s[14:15], exec
	v_xad_u32 v10, v11, -1, v9
; %bb.407:                              ;   in Loop: Header=BB5_367 Depth=1
	s_or_b64 exec, exec, s[16:17]
	s_and_b64 s[14:15], s[14:15], exec
.LBB5_408:                              ;   in Loop: Header=BB5_367 Depth=1
	s_or_b64 exec, exec, s[12:13]
	s_and_b64 s[12:13], s[14:15], exec
	s_andn2_saveexec_b64 s[10:11], s[10:11]
	s_cbranch_execz .LBB5_377
.LBB5_409:                              ;   in Loop: Header=BB5_367 Depth=1
	s_mov_b64 s[16:17], exec
	v_mbcnt_lo_u32_b32 v10, s16, 0
	v_mbcnt_hi_u32_b32 v10, s17, v10
	v_cmp_eq_u32_e32 vcc, 0, v10
                                        ; implicit-def: $vgpr11
	s_and_saveexec_b64 s[14:15], vcc
	s_cbranch_execz .LBB5_411
; %bb.410:                              ;   in Loop: Header=BB5_367 Depth=1
	s_bcnt1_i32_b64 s16, s[16:17]
	v_mov_b32_e32 v11, s16
	ds_add_rtn_u32 v11, v17, v11 offset:384
.LBB5_411:                              ;   in Loop: Header=BB5_367 Depth=1
	s_or_b64 exec, exec, s[14:15]
	s_waitcnt lgkmcnt(0)
	v_readfirstlane_b32 s14, v11
	v_add_u32_e32 v10, s14, v10
	s_or_b64 s[12:13], s[12:13], exec
	s_or_b64 exec, exec, s[10:11]
	s_and_saveexec_b64 s[10:11], s[12:13]
	s_cbranch_execnz .LBB5_378
	s_branch .LBB5_379
.LBB5_412:                              ;   in Loop: Header=BB5_367 Depth=1
	v_cmp_eq_u32_e32 vcc, v11, v23
	s_mov_b64 s[14:15], 0
                                        ; implicit-def: $vgpr10
	s_and_saveexec_b64 s[12:13], vcc
	s_cbranch_execz .LBB5_418
; %bb.413:                              ;   in Loop: Header=BB5_367 Depth=1
	s_mov_b64 s[16:17], exec
	v_mbcnt_lo_u32_b32 v10, s16, 0
	v_mbcnt_hi_u32_b32 v10, s17, v10
	v_cmp_eq_u32_e32 vcc, 0, v10
                                        ; implicit-def: $vgpr11
	s_and_saveexec_b64 s[14:15], vcc
	s_cbranch_execz .LBB5_415
; %bb.414:                              ;   in Loop: Header=BB5_367 Depth=1
	s_bcnt1_i32_b64 s16, s[16:17]
	v_mov_b32_e32 v11, s16
	ds_add_rtn_u32 v11, v17, v11 offset:512
.LBB5_415:                              ;   in Loop: Header=BB5_367 Depth=1
	s_or_b64 exec, exec, s[14:15]
	s_waitcnt lgkmcnt(0)
	v_readfirstlane_b32 s14, v11
	v_add_u32_e32 v11, s14, v10
	v_cmp_lt_i32_e32 vcc, v11, v22
	s_mov_b64 s[14:15], 0
                                        ; implicit-def: $vgpr10
	s_and_saveexec_b64 s[16:17], vcc
; %bb.416:                              ;   in Loop: Header=BB5_367 Depth=1
	s_mov_b64 s[14:15], exec
	v_xad_u32 v10, v11, -1, v9
; %bb.417:                              ;   in Loop: Header=BB5_367 Depth=1
	s_or_b64 exec, exec, s[16:17]
	s_and_b64 s[14:15], s[14:15], exec
.LBB5_418:                              ;   in Loop: Header=BB5_367 Depth=1
	s_or_b64 exec, exec, s[12:13]
	s_and_b64 s[12:13], s[14:15], exec
	s_andn2_saveexec_b64 s[10:11], s[10:11]
	s_cbranch_execz .LBB5_381
.LBB5_419:                              ;   in Loop: Header=BB5_367 Depth=1
	s_mov_b64 s[16:17], exec
	v_mbcnt_lo_u32_b32 v10, s16, 0
	v_mbcnt_hi_u32_b32 v10, s17, v10
	v_cmp_eq_u32_e32 vcc, 0, v10
                                        ; implicit-def: $vgpr11
	s_and_saveexec_b64 s[14:15], vcc
	s_cbranch_execz .LBB5_421
; %bb.420:                              ;   in Loop: Header=BB5_367 Depth=1
	s_bcnt1_i32_b64 s16, s[16:17]
	v_mov_b32_e32 v11, s16
	ds_add_rtn_u32 v11, v17, v11 offset:384
.LBB5_421:                              ;   in Loop: Header=BB5_367 Depth=1
	s_or_b64 exec, exec, s[14:15]
	s_waitcnt lgkmcnt(0)
	v_readfirstlane_b32 s14, v11
	v_add_u32_e32 v10, s14, v10
	s_or_b64 s[12:13], s[12:13], exec
	s_or_b64 exec, exec, s[10:11]
	s_and_saveexec_b64 s[10:11], s[12:13]
	s_cbranch_execz .LBB5_366
.LBB5_422:                              ;   in Loop: Header=BB5_367 Depth=1
	v_ashrrev_i32_e32 v11, 31, v10
	v_lshlrev_b64 v[10:11], 2, v[10:11]
	v_add_co_u32_e32 v14, vcc, v4, v10
	v_addc_co_u32_e32 v15, vcc, v5, v11, vcc
	v_add_co_u32_e32 v10, vcc, v6, v10
	v_add_u32_e32 v12, 3, v3
	v_addc_co_u32_e32 v11, vcc, v7, v11, vcc
	flat_store_dword v[14:15], v13
	flat_store_dword v[10:11], v12
	s_branch .LBB5_366
.LBB5_423:
	s_or_b64 exec, exec, s[6:7]
	v_cmp_gt_u32_e32 vcc, v24, v2
	s_and_saveexec_b64 s[6:7], vcc
	s_cbranch_execz .LBB5_428
; %bb.424:
	v_lshlrev_b32_e32 v3, 2, v2
	v_add_co_u32_e32 v10, vcc, v0, v3
	v_addc_co_u32_e32 v11, vcc, 0, v1, vcc
	flat_load_dword v3, v[10:11]
	v_bfrev_b32_e32 v10, -2
	s_mov_b64 s[10:11], 0
	s_waitcnt vmcnt(0) lgkmcnt(0)
	v_cmp_gt_i32_e32 vcc, 0, v3
	v_cndmask_b32_e64 v10, v10, 0, vcc
	v_xor_b32_e32 v10, v10, v3
	v_and_b32_e32 v11, v10, v34
	v_cmp_ge_u32_e32 vcc, v11, v23
                                        ; implicit-def: $vgpr10
	s_and_saveexec_b64 s[8:9], vcc
	s_xor_b64 s[8:9], exec, s[8:9]
	s_cbranch_execnz .LBB5_435
; %bb.425:
	s_andn2_saveexec_b64 s[8:9], s[8:9]
	s_cbranch_execnz .LBB5_442
.LBB5_426:
	s_or_b64 exec, exec, s[8:9]
	s_and_b64 exec, exec, s[10:11]
	s_cbranch_execz .LBB5_428
.LBB5_427:
	v_ashrrev_i32_e32 v11, 31, v10
	v_lshlrev_b64 v[10:11], 2, v[10:11]
	v_add_co_u32_e32 v12, vcc, v4, v10
	v_addc_co_u32_e32 v13, vcc, v5, v11, vcc
	v_add_co_u32_e32 v10, vcc, v6, v10
	v_addc_co_u32_e32 v11, vcc, v7, v11, vcc
	flat_store_dword v[12:13], v3
	flat_store_dword v[10:11], v2
.LBB5_428:
	s_or_b64 exec, exec, s[6:7]
	v_lshlrev_b32_e32 v3, 2, v26
	v_add3_u32 v2, v24, v2, v3
	v_cmp_lt_i32_e32 vcc, v2, v8
	s_and_saveexec_b64 s[6:7], vcc
	s_cbranch_execz .LBB5_433
; %bb.429:
	v_ashrrev_i32_e32 v3, 31, v2
	v_lshlrev_b64 v[10:11], 2, v[2:3]
	v_add_co_u32_e32 v0, vcc, v0, v10
	v_addc_co_u32_e32 v1, vcc, v1, v11, vcc
	flat_load_dword v3, v[0:1]
	v_bfrev_b32_e32 v0, -2
	s_mov_b64 s[10:11], 0
	s_waitcnt vmcnt(0) lgkmcnt(0)
	v_cmp_gt_i32_e32 vcc, 0, v3
	v_cndmask_b32_e64 v0, v0, 0, vcc
	v_xor_b32_e32 v0, v0, v3
	v_and_b32_e32 v1, v0, v34
	v_cmp_ge_u32_e32 vcc, v1, v23
                                        ; implicit-def: $vgpr0
	s_and_saveexec_b64 s[8:9], vcc
	s_xor_b64 s[8:9], exec, s[8:9]
	s_cbranch_execnz .LBB5_445
; %bb.430:
	s_andn2_saveexec_b64 s[8:9], s[8:9]
	s_cbranch_execnz .LBB5_452
.LBB5_431:
	s_or_b64 exec, exec, s[8:9]
	s_and_b64 exec, exec, s[10:11]
	s_cbranch_execz .LBB5_433
.LBB5_432:
	v_ashrrev_i32_e32 v1, 31, v0
	v_lshlrev_b64 v[0:1], 2, v[0:1]
	v_add_co_u32_e32 v4, vcc, v4, v0
	v_addc_co_u32_e32 v5, vcc, v5, v1, vcc
	v_add_co_u32_e32 v0, vcc, v6, v0
	v_addc_co_u32_e32 v1, vcc, v7, v1, vcc
	flat_store_dword v[4:5], v3
	flat_store_dword v[0:1], v2
.LBB5_433:
	s_or_b64 exec, exec, s[6:7]
.LBB5_434:
	s_or_b64 exec, exec, s[4:5]
	v_accvgpr_read_b32 v47, a7              ;  Reload Reuse
	v_accvgpr_read_b32 v46, a6              ;  Reload Reuse
	;; [unrolled: 1-line block ×8, first 2 shown]
	s_waitcnt vmcnt(0) lgkmcnt(0)
	s_setpc_b64 s[30:31]
.LBB5_435:
	v_cmp_eq_u32_e32 vcc, v11, v23
	s_mov_b64 s[12:13], 0
                                        ; implicit-def: $vgpr10
	s_and_saveexec_b64 s[10:11], vcc
	s_cbranch_execz .LBB5_441
; %bb.436:
	s_mov_b64 s[14:15], exec
	v_mbcnt_lo_u32_b32 v10, s14, 0
	v_mbcnt_hi_u32_b32 v10, s15, v10
	v_cmp_eq_u32_e32 vcc, 0, v10
                                        ; implicit-def: $vgpr11
	s_and_saveexec_b64 s[12:13], vcc
	s_cbranch_execz .LBB5_438
; %bb.437:
	s_bcnt1_i32_b64 s14, s[14:15]
	v_mov_b32_e32 v11, 0
	v_mov_b32_e32 v12, s14
	ds_add_rtn_u32 v11, v11, v12 offset:512
.LBB5_438:
	s_or_b64 exec, exec, s[12:13]
	s_waitcnt lgkmcnt(0)
	v_readfirstlane_b32 s12, v11
	v_add_u32_e32 v11, s12, v10
	v_cmp_lt_i32_e32 vcc, v11, v22
	s_mov_b64 s[12:13], 0
                                        ; implicit-def: $vgpr10
	s_and_saveexec_b64 s[14:15], vcc
	s_xor_b64 s[14:15], exec, s[14:15]
; %bb.439:
	s_mov_b64 s[12:13], exec
	v_xad_u32 v10, v11, -1, v9
; %bb.440:
	s_or_b64 exec, exec, s[14:15]
	s_and_b64 s[12:13], s[12:13], exec
.LBB5_441:
	s_or_b64 exec, exec, s[10:11]
	s_and_b64 s[10:11], s[12:13], exec
	s_andn2_saveexec_b64 s[8:9], s[8:9]
	s_cbranch_execz .LBB5_426
.LBB5_442:
	s_mov_b64 s[14:15], exec
	v_mbcnt_lo_u32_b32 v10, s14, 0
	v_mbcnt_hi_u32_b32 v10, s15, v10
	v_cmp_eq_u32_e32 vcc, 0, v10
                                        ; implicit-def: $vgpr11
	s_and_saveexec_b64 s[12:13], vcc
	s_cbranch_execz .LBB5_444
; %bb.443:
	s_bcnt1_i32_b64 s14, s[14:15]
	v_mov_b32_e32 v11, 0
	v_mov_b32_e32 v12, s14
	ds_add_rtn_u32 v11, v11, v12 offset:384
.LBB5_444:
	s_or_b64 exec, exec, s[12:13]
	s_waitcnt lgkmcnt(0)
	v_readfirstlane_b32 s12, v11
	v_add_u32_e32 v10, s12, v10
	s_or_b64 s[10:11], s[10:11], exec
	s_or_b64 exec, exec, s[8:9]
	s_and_b64 exec, exec, s[10:11]
	s_cbranch_execnz .LBB5_427
	s_branch .LBB5_428
.LBB5_445:
	v_cmp_eq_u32_e32 vcc, v1, v23
	s_mov_b64 s[12:13], 0
                                        ; implicit-def: $vgpr0
	s_and_saveexec_b64 s[10:11], vcc
	s_cbranch_execz .LBB5_451
; %bb.446:
	s_mov_b64 s[14:15], exec
	v_mbcnt_lo_u32_b32 v0, s14, 0
	v_mbcnt_hi_u32_b32 v0, s15, v0
	v_cmp_eq_u32_e32 vcc, 0, v0
                                        ; implicit-def: $vgpr1
	s_and_saveexec_b64 s[12:13], vcc
	s_cbranch_execz .LBB5_448
; %bb.447:
	s_bcnt1_i32_b64 s14, s[14:15]
	v_mov_b32_e32 v1, 0
	v_mov_b32_e32 v8, s14
	ds_add_rtn_u32 v1, v1, v8 offset:512
.LBB5_448:
	s_or_b64 exec, exec, s[12:13]
	s_waitcnt lgkmcnt(0)
	v_readfirstlane_b32 s12, v1
	v_add_u32_e32 v1, s12, v0
	v_cmp_lt_i32_e32 vcc, v1, v22
	s_mov_b64 s[12:13], 0
                                        ; implicit-def: $vgpr0
	s_and_saveexec_b64 s[14:15], vcc
	s_xor_b64 s[14:15], exec, s[14:15]
; %bb.449:
	s_mov_b64 s[12:13], exec
	v_xad_u32 v0, v1, -1, v9
; %bb.450:
	s_or_b64 exec, exec, s[14:15]
	s_and_b64 s[12:13], s[12:13], exec
.LBB5_451:
	s_or_b64 exec, exec, s[10:11]
	s_and_b64 s[10:11], s[12:13], exec
	s_andn2_saveexec_b64 s[8:9], s[8:9]
	s_cbranch_execz .LBB5_431
.LBB5_452:
	s_mov_b64 s[14:15], exec
	v_mbcnt_lo_u32_b32 v0, s14, 0
	v_mbcnt_hi_u32_b32 v0, s15, v0
	v_cmp_eq_u32_e32 vcc, 0, v0
                                        ; implicit-def: $vgpr1
	s_and_saveexec_b64 s[12:13], vcc
	s_cbranch_execz .LBB5_454
; %bb.453:
	s_bcnt1_i32_b64 s14, s[14:15]
	v_mov_b32_e32 v1, 0
	v_mov_b32_e32 v8, s14
	ds_add_rtn_u32 v1, v1, v8 offset:384
.LBB5_454:
	s_or_b64 exec, exec, s[12:13]
	s_waitcnt lgkmcnt(0)
	v_readfirstlane_b32 s12, v1
	v_add_u32_e32 v0, s12, v0
	s_or_b64 s[10:11], s[10:11], exec
	s_or_b64 exec, exec, s[8:9]
	s_and_b64 exec, exec, s[10:11]
	s_cbranch_execnz .LBB5_432
	s_branch .LBB5_433
.Lfunc_end5:
	.size	_ZN5aiter2ob11last_filterIfiLi12ELb1ELb0EEEvPKT_PKT0_PS2_PS5_S5_S5_PNS0_7CounterIS2_S5_EEbib, .Lfunc_end5-_ZN5aiter2ob11last_filterIfiLi12ELb1ELb0EEEvPKT_PKT0_PS2_PS5_S5_S5_PNS0_7CounterIS2_S5_EEbib
                                        ; -- End function
	.section	.AMDGPU.csdata,"",@progbits
; Function info:
; codeLenInByte = 11472
; NumSgprs: 36
; NumVgprs: 56
; NumAgprs: 8
; TotalNumVgprs: 64
; ScratchSize: 0
; MemoryBound: 0
	.section	.text._ZN5aiter2ob27radix_topk_one_block_kernelIfiLi12ELi1024ELb1ELb0ELNS0_5PhaseE0EEEvPKT_PKT0_lS8_S8_S6_PS3_PS6_bPci,"axG",@progbits,_ZN5aiter2ob27radix_topk_one_block_kernelIfiLi12ELi1024ELb1ELb0ELNS0_5PhaseE0EEEvPKT_PKT0_lS8_S8_S6_PS3_PS6_bPci,comdat
	.protected	_ZN5aiter2ob27radix_topk_one_block_kernelIfiLi12ELi1024ELb1ELb0ELNS0_5PhaseE0EEEvPKT_PKT0_lS8_S8_S6_PS3_PS6_bPci ; -- Begin function _ZN5aiter2ob27radix_topk_one_block_kernelIfiLi12ELi1024ELb1ELb0ELNS0_5PhaseE0EEEvPKT_PKT0_lS8_S8_S6_PS3_PS6_bPci
	.globl	_ZN5aiter2ob27radix_topk_one_block_kernelIfiLi12ELi1024ELb1ELb0ELNS0_5PhaseE0EEEvPKT_PKT0_lS8_S8_S6_PS3_PS6_bPci
	.p2align	8
	.type	_ZN5aiter2ob27radix_topk_one_block_kernelIfiLi12ELi1024ELb1ELb0ELNS0_5PhaseE0EEEvPKT_PKT0_lS8_S8_S6_PS3_PS6_bPci,@function
_ZN5aiter2ob27radix_topk_one_block_kernelIfiLi12ELi1024ELb1ELb0ELNS0_5PhaseE0EEEvPKT_PKT0_lS8_S8_S6_PS3_PS6_bPci: ; @_ZN5aiter2ob27radix_topk_one_block_kernelIfiLi12ELi1024ELb1ELb0ELNS0_5PhaseE0EEEvPKT_PKT0_lS8_S8_S6_PS3_PS6_bPci
; %bb.0:
	s_add_u32 flat_scratch_lo, s6, s9
	s_addc_u32 flat_scratch_hi, s7, 0
	s_load_dwordx8 s[20:27], s[4:5], 0x0
	s_load_dwordx2 s[6:7], s[4:5], 0x20
	s_add_u32 s0, s0, s9
	s_addc_u32 s1, s1, 0
	s_mov_b32 s12, s8
	s_waitcnt lgkmcnt(0)
	s_cmp_eq_u64 s[26:27], 0
	s_cselect_b64 s[8:9], -1, 0
	s_cmp_eq_u64 s[6:7], 0
	s_cselect_b64 s[10:11], -1, 0
	s_mov_b32 s13, 0
	s_or_b64 s[8:9], s[8:9], s[10:11]
	v_mov_b32_e32 v44, v0
	s_and_b64 vcc, exec, s[8:9]
	s_mov_b32 s33, s13
	s_mov_b32 s8, s24
	;; [unrolled: 1-line block ×3, first 2 shown]
	s_cbranch_vccnz .LBB6_2
; %bb.1:
	s_lshl_b64 s[8:9], s[12:13], 2
	s_add_u32 s6, s6, s8
	s_addc_u32 s7, s7, s9
	s_add_u32 s10, s26, s8
	s_addc_u32 s11, s27, s9
	s_load_dword s33, s[10:11], 0x0
	s_load_dword s8, s[6:7], 0x0
.LBB6_2:
	s_load_dword s42, s[4:5], 0x28
	s_waitcnt lgkmcnt(0)
	s_sub_i32 s13, s8, s33
	v_cmp_ne_u32_e64 s[8:9], 0, v44
	v_cmp_eq_u32_e64 s[6:7], 0, v44
	s_and_saveexec_b64 s[10:11], s[6:7]
	s_cbranch_execz .LBB6_4
; %bb.3:
	v_mov_b32_e32 v3, 0
	v_mov_b32_e32 v0, s42
	v_mov_b32_e32 v1, s13
	v_mov_b32_e32 v2, s13
	ds_write_b128 v3, v[0:3]
	ds_write2_b32 v3, v3, v3 offset0:96 offset1:128
.LBB6_4:
	s_or_b64 exec, exec, s[10:11]
	s_mul_i32 s10, s12, s25
	s_mul_hi_u32 s11, s12, s24
	s_add_i32 s11, s11, s10
	s_mul_i32 s10, s12, s24
	s_ashr_i32 s15, s33, 31
	s_load_dwordx4 s[36:39], s[4:5], 0x30
	s_add_u32 s14, s10, s33
	s_addc_u32 s15, s11, s15
	s_ashr_i32 s10, s42, 31
	s_mul_hi_u32 s11, s42, s12
	s_mul_i32 s10, s10, s12
	s_add_i32 s25, s11, s10
	s_mul_i32 s24, s42, s12
	s_cmp_gt_i32 s13, s42
	s_mov_b64 s[10:11], -1
	s_waitcnt lgkmcnt(0)
	s_barrier
	s_cbranch_scc1 .LBB6_11
; %bb.5:
	v_cmp_gt_i32_e32 vcc, s42, v44
	s_and_saveexec_b64 s[16:17], vcc
	s_cbranch_execz .LBB6_10
; %bb.6:
	s_lshl_b64 s[10:11], s[24:25], 2
	v_lshlrev_b32_e32 v2, 2, v44
	v_mov_b32_e32 v0, s11
	v_add_co_u32_e32 v4, vcc, s10, v2
	v_addc_co_u32_e32 v5, vcc, 0, v0, vcc
	s_lshl_b64 s[10:11], s[14:15], 2
	v_mov_b32_e32 v1, s39
	v_add_co_u32_e32 v0, vcc, s38, v4
	s_add_u32 s10, s20, s10
	v_addc_co_u32_e32 v1, vcc, v1, v5, vcc
	s_addc_u32 s11, s21, s11
	v_mov_b32_e32 v3, s11
	v_add_co_u32_e32 v2, vcc, s10, v2
	v_addc_co_u32_e32 v3, vcc, 0, v3, vcc
	v_mov_b32_e32 v6, s37
	v_add_co_u32_e32 v4, vcc, s36, v4
	v_addc_co_u32_e32 v5, vcc, v6, v5, vcc
	s_mov_b64 s[18:19], 0
	v_mov_b32_e32 v6, v44
	s_branch .LBB6_8
.LBB6_7:                                ;   in Loop: Header=BB6_8 Depth=1
	s_or_b64 exec, exec, s[10:11]
	v_add_co_u32_e32 v0, vcc, 0x1000, v0
	v_addc_co_u32_e32 v1, vcc, 0, v1, vcc
	v_add_co_u32_e32 v2, vcc, 0x1000, v2
	v_add_u32_e32 v6, 0x400, v6
	v_addc_co_u32_e32 v3, vcc, 0, v3, vcc
	s_waitcnt vmcnt(0)
	global_store_dword v[4:5], v7, off
	v_add_co_u32_e32 v4, vcc, 0x1000, v4
	v_cmp_le_i32_e64 s[10:11], s42, v6
	s_or_b64 s[18:19], s[10:11], s[18:19]
	v_addc_co_u32_e32 v5, vcc, 0, v5, vcc
	s_andn2_b64 exec, exec, s[18:19]
	s_cbranch_execz .LBB6_10
.LBB6_8:                                ; =>This Inner Loop Header: Depth=1
	v_add_u32_e32 v7, s33, v6
	v_cmp_gt_i32_e32 vcc, s13, v6
	v_cndmask_b32_e32 v7, -1, v7, vcc
	global_store_dword v[0:1], v7, off
	v_mov_b32_e32 v7, 0
	s_and_saveexec_b64 s[10:11], vcc
	s_cbranch_execz .LBB6_7
; %bb.9:                                ;   in Loop: Header=BB6_8 Depth=1
	global_load_dword v7, v[2:3], off
	s_branch .LBB6_7
.LBB6_10:
	s_or_b64 exec, exec, s[16:17]
	s_mov_b64 s[10:11], 0
.LBB6_11:
	s_andn2_b64 vcc, exec, s[10:11]
	s_cbranch_vccnz .LBB6_227
; %bb.12:
	s_load_dword s16, s[4:5], 0x64
	s_movk_i32 s10, 0x1000
	v_lshlrev_b32_e32 v30, 2, v44
	s_waitcnt lgkmcnt(0)
	s_and_b32 s43, s16, 0xffff
	v_cvt_f32_u32_e32 v0, s43
	v_add_u32_e32 v1, s43, v44
	v_mov_b32_e32 v2, s43
	s_sub_i32 s17, 0, s43
	v_rcp_iflag_f32_e32 v0, v0
	v_cmp_gt_u32_e32 vcc, s10, v1
	v_max_u32_e32 v3, 0x1000, v1
	v_addc_co_u32_e64 v1, s[10:11], v44, v2, vcc
	v_mul_f32_e32 v0, 0x4f7ffffe, v0
	v_cvt_u32_f32_e32 v0, v0
	v_sub_u32_e32 v1, v3, v1
	v_mul_lo_u32 v2, s17, v0
	v_mul_hi_u32 v2, v0, v2
	v_add_u32_e32 v0, v0, v2
	v_mul_hi_u32 v0, v1, v0
	v_mul_lo_u32 v2, v0, s43
	v_sub_u32_e32 v1, v1, v2
	v_add_u32_e32 v3, 1, v0
	v_cmp_le_u32_e64 s[10:11], s43, v1
	v_subrev_u32_e32 v2, s43, v1
	v_cndmask_b32_e64 v0, v0, v3, s[10:11]
	v_cndmask_b32_e64 v1, v1, v2, s[10:11]
	v_add_u32_e32 v2, 1, v0
	v_cmp_le_u32_e64 s[10:11], s43, v1
	v_cndmask_b32_e64 v0, v0, v2, s[10:11]
	v_addc_co_u32_e64 v34, s[10:11], 0, v0, vcc
	v_addc_co_u32_e32 v31, vcc, 1, v0, vcc
	v_cmp_lt_u32_e32 vcc, 1, v31
	v_cmp_eq_u16_e64 s[10:11], s16, 1
	s_and_b64 s[30:31], vcc, s[10:11]
	s_mov_b64 s[16:17], -1
	v_mov_b32_e32 v0, v44
	v_mov_b32_e32 v1, v30
	s_and_saveexec_b64 s[10:11], s[30:31]
	s_cbranch_execz .LBB6_23
; %bb.13:
	v_add_u32_e32 v1, -1, v34
	v_lshrrev_b32_e32 v0, 1, v1
	v_add_u32_e32 v0, 1, v0
	v_cmp_lt_u32_e32 vcc, 13, v1
	v_mov_b32_e32 v4, 0
	s_and_saveexec_b64 s[16:17], vcc
	s_cbranch_execz .LBB6_17
; %bb.14:
	v_and_b32_e32 v1, -8, v0
	v_add_u32_e32 v2, 0x4480, v30
	s_mov_b32 s26, 0
	s_mov_b64 s[18:19], 0
	v_mov_b32_e32 v3, 0
.LBB6_15:                               ; =>This Inner Loop Header: Depth=1
	v_add_u32_e32 v1, -8, v1
	s_add_i32 s26, s26, 16
	v_cmp_eq_u32_e32 vcc, 0, v1
	ds_write2_b32 v2, v3, v3 offset1:1
	ds_write2_b32 v2, v3, v3 offset0:2 offset1:3
	ds_write2_b32 v2, v3, v3 offset0:4 offset1:5
	;; [unrolled: 1-line block ×7, first 2 shown]
	v_add_u32_e32 v2, 64, v2
	s_or_b64 s[18:19], vcc, s[18:19]
	v_mov_b32_e32 v4, s26
	s_andn2_b64 exec, exec, s[18:19]
	s_cbranch_execnz .LBB6_15
; %bb.16:
	s_or_b64 exec, exec, s[18:19]
.LBB6_17:
	s_or_b64 exec, exec, s[16:17]
	v_and_b32_e32 v0, 7, v0
	v_cmp_ne_u32_e32 vcc, 0, v0
	s_and_saveexec_b64 s[16:17], vcc
	s_cbranch_execz .LBB6_20
; %bb.18:
	v_lshlrev_b32_e32 v1, 2, v4
	s_movk_i32 s18, 0x4480
	v_add3_u32 v1, v1, v30, s18
	s_mov_b64 s[18:19], 0
	v_mov_b32_e32 v2, 0
.LBB6_19:                               ; =>This Inner Loop Header: Depth=1
	v_add_u32_e32 v0, -1, v0
	v_cmp_eq_u32_e32 vcc, 0, v0
	ds_write2_b32 v1, v2, v2 offset1:1
	s_or_b64 s[18:19], vcc, s[18:19]
	v_add_u32_e32 v1, 8, v1
	s_andn2_b64 exec, exec, s[18:19]
	s_cbranch_execnz .LBB6_19
.LBB6_20:
	s_or_b64 exec, exec, s[16:17]
	v_and_b32_e32 v2, -2, v31
	v_cmp_ne_u32_e32 vcc, v31, v2
	s_mov_b64 s[16:17], 0
                                        ; implicit-def: $vgpr0
                                        ; implicit-def: $vgpr1
	s_and_saveexec_b64 s[18:19], vcc
	s_xor_b64 s[18:19], exec, s[18:19]
; %bb.21:
	v_add_u32_e32 v0, v44, v2
	s_mov_b64 s[16:17], exec
	v_lshlrev_b32_e32 v1, 2, v0
; %bb.22:
	s_or_b64 exec, exec, s[18:19]
	s_orn2_b64 s[16:17], s[16:17], exec
.LBB6_23:
	s_or_b64 exec, exec, s[10:11]
	s_lshl_b32 s46, s43, 2
	s_and_saveexec_b64 s[10:11], s[16:17]
	s_cbranch_execz .LBB6_26
; %bb.24:
	v_add_u32_e32 v1, 0x4480, v1
	s_mov_b64 s[16:17], 0
	v_mov_b32_e32 v2, 0
	s_movk_i32 s18, 0xfff
.LBB6_25:                               ; =>This Inner Loop Header: Depth=1
	v_add_u32_e32 v0, s43, v0
	v_cmp_lt_u32_e32 vcc, s18, v0
	ds_write_b32 v1, v2
	s_or_b64 s[16:17], vcc, s[16:17]
	v_add_u32_e32 v1, s46, v1
	s_andn2_b64 exec, exec, s[16:17]
	s_cbranch_execnz .LBB6_25
.LBB6_26:
	s_or_b64 exec, exec, s[10:11]
	s_and_saveexec_b64 s[10:11], s[6:7]
	s_cbranch_execz .LBB6_28
; %bb.27:
	v_mov_b32_e32 v0, 0
	ds_write_b32 v0, v0 offset:128
.LBB6_28:
	s_or_b64 exec, exec, s[10:11]
	s_lshl_b64 s[26:27], s[14:15], 2
	s_add_u32 s45, s20, s26
	s_addc_u32 s44, s21, s27
	s_and_b32 s10, s45, 15
	s_sub_i32 s14, 16, s10
	s_mov_b32 s11, 0
	s_lshr_b32 s14, s14, 2
	s_cmp_lg_u64 s[10:11], 0
	s_cselect_b32 s10, s14, 0
	s_min_i32 s14, s10, s13
	s_ashr_i32 s15, s14, 31
	s_lshl_b64 s[10:11], s[14:15], 2
	s_add_u32 s47, s45, s10
	s_addc_u32 s48, s44, s11
	s_sub_i32 s10, s13, s14
	s_ashr_i32 s11, s10, 31
	s_lshr_b32 s11, s11, 30
	s_add_i32 s10, s10, s11
	s_ashr_i32 s28, s10, 2
	s_ashr_i32 s29, s28, 31
	s_lshl_b32 s15, s43, 4
	s_add_u32 s50, s47, s15
	v_mov_b32_e32 v45, 0
	s_addc_u32 s52, s48, 0
	v_mad_u64_u32 v[20:21], s[10:11], s43, 3, v[44:45]
	s_add_u32 s51, s50, s15
	s_mov_b64 s[16:17], 0
	s_mul_i32 s49, s43, 3
	v_cmp_gt_u64_e64 s[18:19], s[28:29], v[20:21]
	s_addc_u32 s53, s52, 0
	v_mov_b32_e32 v8, v44
	s_waitcnt lgkmcnt(0)
	s_barrier
	s_and_saveexec_b64 s[20:21], s[18:19]
	s_cbranch_execz .LBB6_32
; %bb.29:
	v_mov_b32_e32 v12, s48
	v_mov_b32_e32 v13, s52
	;; [unrolled: 1-line block ×5, first 2 shown]
	v_pk_mov_b32 v[10:11], v[20:21], v[20:21] op_sel:[0,1]
	v_pk_mov_b32 v[8:9], v[44:45], v[44:45] op_sel:[0,1]
.LBB6_30:                               ; =>This Inner Loop Header: Depth=1
	v_lshlrev_b64 v[4:5], 4, v[8:9]
	v_add_co_u32_e32 v0, vcc, s47, v4
	v_addc_co_u32_e32 v1, vcc, v12, v5, vcc
	global_load_dwordx4 v[0:3], v[0:1], off
	v_lshlrev_b64 v[6:7], 4, v[10:11]
	v_add_co_u32_e32 v10, vcc, s50, v4
	v_addc_co_u32_e32 v11, vcc, v13, v5, vcc
	global_load_dwordx4 v[22:25], v[10:11], off
	v_add_co_u32_e32 v18, vcc, s51, v4
	v_addc_co_u32_e32 v19, vcc, v16, v5, vcc
	v_add_co_u32_e32 v26, vcc, s47, v6
	v_addc_co_u32_e32 v27, vcc, v12, v7, vcc
	v_add_u32_e32 v8, s46, v8
	v_ashrrev_i32_e32 v9, 31, v8
	s_waitcnt vmcnt(1)
	v_cmp_gt_i32_e32 vcc, 0, v0
	v_cndmask_b32_e64 v4, v14, 0, vcc
	v_cmp_gt_i32_e32 vcc, 0, v1
	v_cndmask_b32_e64 v5, v14, 0, vcc
	;; [unrolled: 2-line block ×4, first 2 shown]
	v_xor_b32_e32 v0, v4, v0
	v_xor_b32_e32 v1, v5, v1
	;; [unrolled: 1-line block ×4, first 2 shown]
	v_lshrrev_b32_e32 v0, 18, v0
	v_lshrrev_b32_e32 v1, 18, v1
	;; [unrolled: 1-line block ×4, first 2 shown]
	v_and_b32_e32 v0, 0x3ffc, v0
	v_and_b32_e32 v1, 0x3ffc, v1
	;; [unrolled: 1-line block ×4, first 2 shown]
	ds_add_u32 v0, v15 offset:17536
	ds_add_u32 v1, v15 offset:17536
	;; [unrolled: 1-line block ×4, first 2 shown]
	global_load_dwordx4 v[4:7], v[18:19], off
	global_load_dwordx4 v[0:3], v[26:27], off
	s_waitcnt vmcnt(2)
	v_cmp_gt_i32_e64 s[10:11], 0, v22
	v_cndmask_b32_e64 v11, v14, 0, s[10:11]
	v_cmp_gt_i32_e64 s[10:11], 0, v23
	v_cndmask_b32_e64 v17, v14, 0, s[10:11]
	;; [unrolled: 2-line block ×4, first 2 shown]
	v_xor_b32_e32 v11, v11, v22
	v_xor_b32_e32 v17, v17, v23
	;; [unrolled: 1-line block ×4, first 2 shown]
	v_lshrrev_b32_e32 v11, 18, v11
	v_lshrrev_b32_e32 v17, 18, v17
	;; [unrolled: 1-line block ×4, first 2 shown]
	v_and_b32_e32 v11, 0x3ffc, v11
	v_and_b32_e32 v17, 0x3ffc, v17
	;; [unrolled: 1-line block ×4, first 2 shown]
	ds_add_u32 v11, v15 offset:17536
	ds_add_u32 v17, v15 offset:17536
	;; [unrolled: 1-line block ×4, first 2 shown]
	v_add_co_u32_e32 v10, vcc, s49, v8
	s_waitcnt vmcnt(1)
	v_cmp_gt_i32_e64 s[10:11], 0, v4
	v_cndmask_b32_e64 v11, v14, 0, s[10:11]
	v_cmp_gt_i32_e64 s[10:11], 0, v5
	v_cndmask_b32_e64 v17, v14, 0, s[10:11]
	;; [unrolled: 2-line block ×4, first 2 shown]
	s_waitcnt vmcnt(0)
	v_cmp_gt_i32_e64 s[10:11], 0, v0
	v_cndmask_b32_e64 v22, v14, 0, s[10:11]
	v_cmp_gt_i32_e64 s[10:11], 0, v1
	v_cndmask_b32_e64 v23, v14, 0, s[10:11]
	;; [unrolled: 2-line block ×4, first 2 shown]
	v_xor_b32_e32 v4, v11, v4
	v_xor_b32_e32 v5, v17, v5
	;; [unrolled: 1-line block ×8, first 2 shown]
	v_lshrrev_b32_e32 v4, 18, v4
	v_lshrrev_b32_e32 v5, 18, v5
	;; [unrolled: 1-line block ×8, first 2 shown]
	v_and_b32_e32 v4, 0x3ffc, v4
	v_and_b32_e32 v5, 0x3ffc, v5
	;; [unrolled: 1-line block ×8, first 2 shown]
	ds_add_u32 v4, v15 offset:17536
	ds_add_u32 v5, v15 offset:17536
	;; [unrolled: 1-line block ×8, first 2 shown]
	v_addc_co_u32_e32 v11, vcc, 0, v9, vcc
	v_cmp_le_u64_e32 vcc, s[28:29], v[10:11]
	s_or_b64 s[16:17], vcc, s[16:17]
	s_andn2_b64 exec, exec, s[16:17]
	s_cbranch_execnz .LBB6_30
; %bb.31:
	s_or_b64 exec, exec, s[16:17]
.LBB6_32:
	s_or_b64 exec, exec, s[20:21]
	v_cmp_gt_i32_e32 vcc, s28, v8
	s_and_saveexec_b64 s[10:11], vcc
	s_cbranch_execz .LBB6_35
; %bb.33:
	s_mov_b64 s[16:17], 0
	v_mov_b32_e32 v0, s48
	v_mov_b32_e32 v1, 0x7ff00000
	;; [unrolled: 1-line block ×3, first 2 shown]
.LBB6_34:                               ; =>This Inner Loop Header: Depth=1
	v_ashrrev_i32_e32 v9, 31, v8
	v_lshlrev_b64 v[4:5], 4, v[8:9]
	v_add_co_u32_e32 v4, vcc, s47, v4
	v_addc_co_u32_e32 v5, vcc, v0, v5, vcc
	global_load_dwordx4 v[4:7], v[4:5], off
	v_add_u32_e32 v8, s43, v8
	s_waitcnt vmcnt(0)
	v_cmp_gt_i32_e32 vcc, 0, v4
	v_cndmask_b32_e64 v3, v1, 0, vcc
	v_cmp_gt_i32_e32 vcc, 0, v5
	v_cndmask_b32_e64 v9, v1, 0, vcc
	;; [unrolled: 2-line block ×3, first 2 shown]
	v_cmp_gt_i32_e32 vcc, 0, v7
	v_xor_b32_e32 v3, v3, v4
	v_cndmask_b32_e64 v11, v1, 0, vcc
	v_xor_b32_e32 v4, v9, v5
	v_xor_b32_e32 v5, v10, v6
	v_lshrrev_b32_e32 v3, 18, v3
	v_xor_b32_e32 v6, v11, v7
	v_lshrrev_b32_e32 v4, 18, v4
	v_lshrrev_b32_e32 v5, 18, v5
	v_and_b32_e32 v3, 0x3ffc, v3
	v_lshrrev_b32_e32 v6, 18, v6
	v_and_b32_e32 v4, 0x3ffc, v4
	v_and_b32_e32 v5, 0x3ffc, v5
	ds_add_u32 v3, v2 offset:17536
	ds_add_u32 v4, v2 offset:17536
	ds_add_u32 v5, v2 offset:17536
	v_and_b32_e32 v3, 0x3ffc, v6
	ds_add_u32 v3, v2 offset:17536
	v_cmp_le_i32_e32 vcc, s28, v8
	s_or_b64 s[16:17], vcc, s[16:17]
	s_andn2_b64 exec, exec, s[16:17]
	s_cbranch_execnz .LBB6_34
.LBB6_35:
	s_or_b64 exec, exec, s[10:11]
	v_lshlrev_b32_e32 v0, 2, v44
	v_mov_b32_e32 v1, s44
	v_add_co_u32_e32 v22, vcc, s45, v0
	v_cmp_gt_u32_e64 s[10:11], s14, v44
	v_addc_co_u32_e32 v23, vcc, 0, v1, vcc
	s_and_saveexec_b64 s[16:17], s[10:11]
	s_cbranch_execz .LBB6_37
; %bb.36:
	global_load_dword v0, v[22:23], off
	v_mov_b32_e32 v1, 0x7ff00000
	s_waitcnt vmcnt(0)
	v_cmp_gt_i32_e32 vcc, 0, v0
	v_cndmask_b32_e64 v1, v1, 0, vcc
	v_xor_b32_e32 v0, v1, v0
	v_lshrrev_b32_e32 v0, 18, v0
	v_and_b32_e32 v0, 0x3ffc, v0
	v_mov_b32_e32 v1, 1
	ds_add_u32 v0, v1 offset:17536
.LBB6_37:
	s_or_b64 exec, exec, s[16:17]
	s_lshl_b32 s15, s28, 2
	s_add_i32 s15, s15, s14
	v_add_u32_e32 v0, s15, v44
	v_ashrrev_i32_e32 v1, 31, v0
	v_cmp_gt_i32_e64 s[14:15], s13, v0
	v_lshlrev_b64 v[0:1], 2, v[0:1]
	v_mov_b32_e32 v2, s44
	v_add_co_u32_e32 v24, vcc, s45, v0
	v_addc_co_u32_e32 v25, vcc, v2, v1, vcc
	s_and_saveexec_b64 s[16:17], s[14:15]
	s_cbranch_execz .LBB6_39
; %bb.38:
	global_load_dword v0, v[24:25], off
	v_mov_b32_e32 v1, 0x7ff00000
	s_waitcnt vmcnt(0)
	v_cmp_gt_i32_e32 vcc, 0, v0
	v_cndmask_b32_e64 v1, v1, 0, vcc
	v_xor_b32_e32 v0, v1, v0
	v_lshrrev_b32_e32 v0, 18, v0
	v_and_b32_e32 v0, 0x3ffc, v0
	v_mov_b32_e32 v1, 1
	ds_add_u32 v0, v1 offset:17536
.LBB6_39:
	s_or_b64 exec, exec, s[16:17]
	s_mov_b64 s[16:17], src_shared_base
	v_add_u32_e32 v12, 0x4480, v30
	v_mov_b32_e32 v13, s17
	v_add_u32_e32 v14, 0x5480, v30
	v_mov_b32_e32 v15, s17
	v_add_u32_e32 v16, 0x6480, v30
	v_mov_b32_e32 v17, s17
	v_add_u32_e32 v18, 0x7480, v30
	v_mov_b32_e32 v19, s17
	s_waitcnt lgkmcnt(0)
	s_barrier
	flat_load_dword v0, v[12:13] glc
	s_waitcnt vmcnt(0)
	flat_load_dword v1, v[14:15] glc
	s_waitcnt vmcnt(0)
	;; [unrolled: 2-line block ×4, first 2 shown]
	v_lshrrev_b32_e32 v5, 3, v44
	v_or_b32_e32 v6, 0x400, v44
	v_or_b32_e32 v7, 0x800, v44
	v_or_b32_e32 v8, 0xc00, v44
	v_lshrrev_b32_e32 v9, 1, v44
	v_and_b32_e32 v10, 0x7c, v5
	v_lshrrev_b32_e32 v11, 3, v6
	v_lshrrev_b32_e32 v7, 3, v7
	v_lshrrev_b32_e32 v8, 3, v8
	v_mov_b32_e32 v4, 0x280
	v_add_lshl_u32 v5, v5, v30, 2
	v_lshl_add_u32 v9, v44, 4, v9
	v_add_u32_e32 v6, v30, v10
	v_and_b32_e32 v10, 0xfc, v11
	v_and_b32_e32 v11, 0x17c, v7
	;; [unrolled: 1-line block ×3, first 2 shown]
	v_lshl_add_u32 v32, v9, 2, v4
	v_add_u32_e32 v7, v10, v30
	v_add_u32_e32 v8, v30, v11
	;; [unrolled: 1-line block ×3, first 2 shown]
	v_cmp_gt_u32_e64 s[16:17], 64, v44
	s_waitcnt lgkmcnt(0)
	ds_write_b32 v6, v0 offset:640
	ds_write_b32 v7, v1 offset:4736
	;; [unrolled: 1-line block ×4, first 2 shown]
	s_waitcnt lgkmcnt(0)
	s_barrier
	ds_read2_b32 v[2:3], v5 offset0:160 offset1:161
	ds_read2_b32 v[0:1], v5 offset0:162 offset1:163
	s_waitcnt lgkmcnt(0)
	s_barrier
	v_add_u32_e32 v10, v3, v2
	v_add3_u32 v10, v10, v0, v1
	ds_write_b32 v6, v10 offset:640
	s_waitcnt lgkmcnt(0)
	s_barrier
	s_and_saveexec_b64 s[20:21], s[16:17]
	s_cbranch_execz .LBB6_41
; %bb.40:
	ds_read2_b32 v[26:27], v32 offset1:1
	ds_read2_b32 v[28:29], v32 offset0:2 offset1:3
	ds_read2_b32 v[36:37], v32 offset0:4 offset1:5
	;; [unrolled: 1-line block ×7, first 2 shown]
	s_waitcnt lgkmcnt(7)
	v_add_u32_e32 v11, v27, v26
	s_waitcnt lgkmcnt(6)
	v_add3_u32 v11, v11, v28, v29
	s_waitcnt lgkmcnt(5)
	v_add3_u32 v11, v11, v36, v37
	;; [unrolled: 2-line block ×5, first 2 shown]
	v_mbcnt_lo_u32_b32 v33, -1, 0
	s_waitcnt lgkmcnt(1)
	v_add3_u32 v11, v11, v46, v47
	v_mbcnt_hi_u32_b32 v33, -1, v33
	s_waitcnt lgkmcnt(0)
	v_add3_u32 v11, v11, v48, v49
	v_and_b32_e32 v35, 15, v33
	v_cmp_ne_u32_e32 vcc, 0, v35
	v_mov_b32_dpp v50, v11 row_shr:1 row_mask:0xf bank_mask:0xf
	v_cndmask_b32_e32 v50, 0, v50, vcc
	v_add_u32_e32 v11, v50, v11
	v_cmp_lt_u32_e32 vcc, 1, v35
	s_nop 0
	v_mov_b32_dpp v50, v11 row_shr:2 row_mask:0xf bank_mask:0xf
	v_cndmask_b32_e32 v50, 0, v50, vcc
	v_add_u32_e32 v11, v11, v50
	v_cmp_lt_u32_e32 vcc, 3, v35
	s_nop 0
	;; [unrolled: 5-line block ×3, first 2 shown]
	v_mov_b32_dpp v50, v11 row_shr:8 row_mask:0xf bank_mask:0xf
	v_cndmask_b32_e32 v35, 0, v50, vcc
	v_add_u32_e32 v11, v11, v35
	v_bfe_i32 v50, v33, 4, 1
	v_cmp_lt_u32_e32 vcc, 31, v33
	v_mov_b32_dpp v35, v11 row_bcast:15 row_mask:0xf bank_mask:0xf
	v_and_b32_e32 v35, v50, v35
	v_add_u32_e32 v11, v11, v35
	v_and_b32_e32 v50, 64, v33
	s_nop 0
	v_mov_b32_dpp v35, v11 row_bcast:31 row_mask:0xf bank_mask:0xf
	v_cndmask_b32_e32 v35, 0, v35, vcc
	v_add_u32_e32 v11, v11, v35
	v_add_u32_e32 v35, -1, v33
	v_cmp_lt_i32_e32 vcc, v35, v50
	v_cndmask_b32_e32 v33, v35, v33, vcc
	v_lshlrev_b32_e32 v33, 2, v33
	ds_bpermute_b32 v11, v33, v11
	s_waitcnt lgkmcnt(0)
	v_add_u32_e32 v11, v11, v26
	v_cndmask_b32_e64 v10, v11, v10, s[6:7]
	v_add_u32_e32 v11, v10, v27
	ds_write2_b32 v32, v10, v11 offset1:1
	v_add_u32_e32 v10, v11, v28
	v_add_u32_e32 v11, v10, v29
	ds_write2_b32 v32, v10, v11 offset0:2 offset1:3
	v_add_u32_e32 v10, v11, v36
	v_add_u32_e32 v11, v10, v37
	ds_write2_b32 v32, v10, v11 offset0:4 offset1:5
	;; [unrolled: 3-line block ×7, first 2 shown]
.LBB6_41:
	s_or_b64 exec, exec, s[20:21]
	v_add_u32_e32 v39, 0x280, v5
	v_add_u32_e32 v5, -1, v44
	v_add_u32_e32 v35, 0x280, v6
	v_lshrrev_b32_e32 v6, 5, v5
	v_add_u32_e32 v5, v6, v5
	v_add_u32_e32 v36, 0x280, v7
	;; [unrolled: 1-line block ×4, first 2 shown]
	v_lshl_add_u32 v40, v5, 2, v4
	v_mov_b32_e32 v4, 0
	v_mov_b32_e32 v5, 0
	s_waitcnt lgkmcnt(0)
	s_barrier
	s_and_saveexec_b64 s[20:21], s[8:9]
	s_cbranch_execz .LBB6_43
; %bb.42:
	ds_read_b32 v5, v40
.LBB6_43:
	s_or_b64 exec, exec, s[20:21]
	s_waitcnt lgkmcnt(0)
	v_add_u32_e32 v2, v5, v2
	v_add_u32_e32 v3, v2, v3
	;; [unrolled: 1-line block ×4, first 2 shown]
	s_barrier
	ds_write2_b32 v39, v2, v3 offset1:1
	ds_write2_b32 v39, v0, v1 offset0:2 offset1:3
	s_waitcnt lgkmcnt(0)
	s_barrier
	ds_read_b32 v0, v35
	ds_read_b32 v1, v36 offset:4096
	ds_read_b32 v2, v37 offset:8192
	;; [unrolled: 1-line block ×3, first 2 shown]
	s_waitcnt lgkmcnt(3)
	flat_store_dword v[12:13], v0
	s_waitcnt vmcnt(0) lgkmcnt(0)
	flat_store_dword v[14:15], v1
	s_waitcnt vmcnt(0)
	flat_store_dword v[16:17], v2
	s_waitcnt vmcnt(0)
	flat_store_dword v[18:19], v3
	s_waitcnt vmcnt(0) lgkmcnt(0)
	s_barrier
	ds_read_b32 v0, v4 offset:12
	v_add_u32_e32 v33, 0x447c, v30
	v_lshlrev_b32_e32 v1, 20, v44
	s_lshl_b32 s40, s43, 20
	s_mov_b64 s[34:35], 0
	s_movk_i32 s41, 0xfff
	v_mov_b32_e32 v2, v33
	v_mov_b32_e32 v3, v44
	s_branch .LBB6_45
.LBB6_44:                               ;   in Loop: Header=BB6_45 Depth=1
	s_or_b64 exec, exec, s[20:21]
	v_add_u32_e32 v3, s43, v3
	v_cmp_lt_u32_e32 vcc, s41, v3
	v_add_u32_e32 v2, s46, v2
	s_or_b64 s[34:35], vcc, s[34:35]
	v_add_u32_e32 v1, s40, v1
	s_andn2_b64 exec, exec, s[34:35]
	s_cbranch_execz .LBB6_49
.LBB6_45:                               ; =>This Inner Loop Header: Depth=1
	v_cmp_ne_u32_e32 vcc, 0, v3
	v_mov_b32_e32 v5, 0
	s_and_saveexec_b64 s[20:21], vcc
	s_cbranch_execz .LBB6_47
; %bb.46:                               ;   in Loop: Header=BB6_45 Depth=1
	ds_read_b32 v5, v2
.LBB6_47:                               ;   in Loop: Header=BB6_45 Depth=1
	s_or_b64 exec, exec, s[20:21]
	ds_read_b32 v6, v2 offset:4
	s_waitcnt lgkmcnt(1)
	v_cmp_gt_i32_e32 vcc, s42, v5
	s_waitcnt lgkmcnt(0)
	v_cmp_le_i32_e64 s[20:21], s42, v6
	s_and_b64 s[54:55], vcc, s[20:21]
	s_and_saveexec_b64 s[20:21], s[54:55]
	s_cbranch_execz .LBB6_44
; %bb.48:                               ;   in Loop: Header=BB6_45 Depth=1
	v_sub_u32_e32 v7, v6, v5
	v_sub_u32_e32 v6, s42, v5
	v_or_b32_e32 v0, v0, v1
	ds_write_b64 v4, v[6:7]
	ds_write_b32 v4, v0 offset:12
	s_branch .LBB6_44
.LBB6_49:
	s_or_b64 exec, exec, s[34:35]
	s_and_saveexec_b64 s[20:21], s[6:7]
	s_cbranch_execz .LBB6_51
; %bb.50:
	v_mov_b32_e32 v0, 0
	ds_read_b32 v1, v0 offset:4
	s_waitcnt lgkmcnt(0)
	ds_write_b32 v0, v1 offset:8
.LBB6_51:
	s_or_b64 exec, exec, s[20:21]
	v_mov_b32_e32 v0, 0
	s_waitcnt lgkmcnt(0)
	s_barrier
	ds_read_b64 v[26:27], v0
	s_mov_b32 s20, 0
	s_waitcnt lgkmcnt(0)
	v_cmp_eq_u32_e32 vcc, v27, v26
	s_cbranch_vccnz .LBB6_216
; %bb.52:
	s_mov_b64 s[34:35], -1
	v_mov_b32_e32 v0, v44
	v_mov_b32_e32 v1, v30
	s_and_saveexec_b64 s[20:21], s[30:31]
	s_cbranch_execz .LBB6_63
; %bb.53:
	v_add_u32_e32 v1, -1, v34
	v_lshrrev_b32_e32 v0, 1, v1
	v_add_u32_e32 v0, 1, v0
	v_cmp_lt_u32_e32 vcc, 13, v1
	v_mov_b32_e32 v4, 0
	s_and_saveexec_b64 s[34:35], vcc
	s_cbranch_execz .LBB6_57
; %bb.54:
	v_and_b32_e32 v1, -8, v0
	v_add_u32_e32 v2, 0x4480, v30
	s_mov_b32 s54, 0
	s_mov_b64 s[40:41], 0
	v_mov_b32_e32 v3, 0
.LBB6_55:                               ; =>This Inner Loop Header: Depth=1
	v_add_u32_e32 v1, -8, v1
	s_add_i32 s54, s54, 16
	v_cmp_eq_u32_e32 vcc, 0, v1
	ds_write2_b32 v2, v3, v3 offset1:1
	ds_write2_b32 v2, v3, v3 offset0:2 offset1:3
	ds_write2_b32 v2, v3, v3 offset0:4 offset1:5
	ds_write2_b32 v2, v3, v3 offset0:6 offset1:7
	ds_write2_b32 v2, v3, v3 offset0:8 offset1:9
	ds_write2_b32 v2, v3, v3 offset0:10 offset1:11
	ds_write2_b32 v2, v3, v3 offset0:12 offset1:13
	ds_write2_b32 v2, v3, v3 offset0:14 offset1:15
	v_add_u32_e32 v2, 64, v2
	s_or_b64 s[40:41], vcc, s[40:41]
	v_mov_b32_e32 v4, s54
	s_andn2_b64 exec, exec, s[40:41]
	s_cbranch_execnz .LBB6_55
; %bb.56:
	s_or_b64 exec, exec, s[40:41]
.LBB6_57:
	s_or_b64 exec, exec, s[34:35]
	v_and_b32_e32 v0, 7, v0
	v_cmp_ne_u32_e32 vcc, 0, v0
	s_and_saveexec_b64 s[34:35], vcc
	s_cbranch_execz .LBB6_60
; %bb.58:
	v_lshlrev_b32_e32 v1, 2, v4
	s_movk_i32 s40, 0x4480
	v_add3_u32 v1, v1, v30, s40
	s_mov_b64 s[40:41], 0
	v_mov_b32_e32 v2, 0
.LBB6_59:                               ; =>This Inner Loop Header: Depth=1
	v_add_u32_e32 v0, -1, v0
	v_cmp_eq_u32_e32 vcc, 0, v0
	ds_write2_b32 v1, v2, v2 offset1:1
	s_or_b64 s[40:41], vcc, s[40:41]
	v_add_u32_e32 v1, 8, v1
	s_andn2_b64 exec, exec, s[40:41]
	s_cbranch_execnz .LBB6_59
.LBB6_60:
	s_or_b64 exec, exec, s[34:35]
	v_and_b32_e32 v2, -2, v31
	v_cmp_ne_u32_e32 vcc, v31, v2
	s_mov_b64 s[34:35], 0
                                        ; implicit-def: $vgpr0
                                        ; implicit-def: $vgpr1
	s_and_saveexec_b64 s[40:41], vcc
; %bb.61:
	v_add_u32_e32 v0, v44, v2
	s_mov_b64 s[34:35], exec
	v_lshlrev_b32_e32 v1, 2, v0
; %bb.62:
	s_or_b64 exec, exec, s[40:41]
	s_orn2_b64 s[34:35], s[34:35], exec
.LBB6_63:
	s_or_b64 exec, exec, s[20:21]
	s_and_saveexec_b64 s[20:21], s[34:35]
	s_cbranch_execz .LBB6_66
; %bb.64:
	v_add_u32_e32 v1, 0x4480, v1
	s_mov_b64 s[34:35], 0
	v_mov_b32_e32 v2, 0
	s_movk_i32 s40, 0xfff
.LBB6_65:                               ; =>This Inner Loop Header: Depth=1
	v_add_u32_e32 v0, s43, v0
	v_cmp_lt_u32_e32 vcc, s40, v0
	ds_write_b32 v1, v2
	s_or_b64 s[34:35], vcc, s[34:35]
	v_add_u32_e32 v1, s46, v1
	s_andn2_b64 exec, exec, s[34:35]
	s_cbranch_execnz .LBB6_65
.LBB6_66:
	s_or_b64 exec, exec, s[20:21]
	s_and_saveexec_b64 s[20:21], s[6:7]
	s_cbranch_execz .LBB6_68
; %bb.67:
	v_mov_b32_e32 v0, 0
	ds_write_b32 v0, v0 offset:128
.LBB6_68:
	s_or_b64 exec, exec, s[20:21]
	v_mov_b32_e32 v0, 0
	s_waitcnt lgkmcnt(0)
	s_barrier
	ds_read_b32 v27, v0 offset:12
	v_mov_b32_e32 v28, v44
	s_and_saveexec_b64 s[20:21], s[18:19]
	s_cbranch_execz .LBB6_104
; %bb.69:
	s_mov_b64 s[34:35], 0
	v_mov_b32_e32 v41, s48
	v_mov_b32_e32 v42, s52
	v_bfrev_b32_e32 v43, -2
	v_mov_b32_e32 v46, 1
	v_mov_b32_e32 v47, s53
	v_pk_mov_b32 v[8:9], v[20:21], v[20:21] op_sel:[0,1]
	v_pk_mov_b32 v[28:29], v[44:45], v[44:45] op_sel:[0,1]
	s_branch .LBB6_71
.LBB6_70:                               ;   in Loop: Header=BB6_71 Depth=1
	s_or_b64 exec, exec, s[40:41]
	v_add_u32_e32 v28, s46, v28
	v_ashrrev_i32_e32 v29, 31, v28
	v_add_co_u32_e32 v8, vcc, s49, v28
	v_addc_co_u32_e32 v9, vcc, 0, v29, vcc
	v_cmp_le_u64_e32 vcc, s[28:29], v[8:9]
	s_or_b64 s[34:35], vcc, s[34:35]
	s_andn2_b64 exec, exec, s[34:35]
	s_cbranch_execz .LBB6_103
.LBB6_71:                               ; =>This Inner Loop Header: Depth=1
	v_lshlrev_b64 v[10:11], 4, v[28:29]
	v_add_co_u32_e32 v0, vcc, s47, v10
	v_addc_co_u32_e32 v1, vcc, v41, v11, vcc
	global_load_dwordx4 v[0:3], v[0:1], off
	v_add_co_u32_e32 v4, vcc, s50, v10
	v_addc_co_u32_e32 v5, vcc, v42, v11, vcc
	global_load_dwordx4 v[4:7], v[4:5], off
	s_waitcnt vmcnt(1)
	v_cmp_gt_i32_e32 vcc, 0, v0
	v_cndmask_b32_e64 v29, v43, 0, vcc
	v_xor_b32_e32 v0, v29, v0
	v_and_b32_e32 v29, 0xfff00000, v0
	s_waitcnt lgkmcnt(0)
	v_cmp_eq_u32_e32 vcc, v29, v27
	s_and_saveexec_b64 s[40:41], vcc
	s_cbranch_execz .LBB6_73
; %bb.72:                               ;   in Loop: Header=BB6_71 Depth=1
	v_lshrrev_b32_e32 v0, 6, v0
	v_and_b32_e32 v0, 0x3ffc, v0
	ds_add_u32 v0, v46 offset:17536
.LBB6_73:                               ;   in Loop: Header=BB6_71 Depth=1
	s_or_b64 exec, exec, s[40:41]
	v_cmp_gt_i32_e32 vcc, 0, v1
	v_cndmask_b32_e64 v0, v43, 0, vcc
	v_xor_b32_e32 v0, v0, v1
	v_and_b32_e32 v1, 0xfff00000, v0
	v_cmp_eq_u32_e32 vcc, v1, v27
	s_and_saveexec_b64 s[40:41], vcc
	s_cbranch_execz .LBB6_75
; %bb.74:                               ;   in Loop: Header=BB6_71 Depth=1
	v_lshrrev_b32_e32 v0, 6, v0
	v_and_b32_e32 v0, 0x3ffc, v0
	ds_add_u32 v0, v46 offset:17536
.LBB6_75:                               ;   in Loop: Header=BB6_71 Depth=1
	s_or_b64 exec, exec, s[40:41]
	v_cmp_gt_i32_e32 vcc, 0, v2
	v_cndmask_b32_e64 v0, v43, 0, vcc
	v_xor_b32_e32 v0, v0, v2
	v_and_b32_e32 v1, 0xfff00000, v0
	v_cmp_eq_u32_e32 vcc, v1, v27
	s_and_saveexec_b64 s[40:41], vcc
	s_cbranch_execz .LBB6_77
; %bb.76:                               ;   in Loop: Header=BB6_71 Depth=1
	v_lshrrev_b32_e32 v0, 6, v0
	v_and_b32_e32 v0, 0x3ffc, v0
	ds_add_u32 v0, v46 offset:17536
.LBB6_77:                               ;   in Loop: Header=BB6_71 Depth=1
	s_or_b64 exec, exec, s[40:41]
	v_cmp_gt_i32_e32 vcc, 0, v3
	v_cndmask_b32_e64 v0, v43, 0, vcc
	v_xor_b32_e32 v0, v0, v3
	v_and_b32_e32 v1, 0xfff00000, v0
	v_cmp_eq_u32_e32 vcc, v1, v27
	s_and_saveexec_b64 s[40:41], vcc
	s_cbranch_execz .LBB6_79
; %bb.78:                               ;   in Loop: Header=BB6_71 Depth=1
	v_lshrrev_b32_e32 v0, 6, v0
	v_and_b32_e32 v0, 0x3ffc, v0
	ds_add_u32 v0, v46 offset:17536
.LBB6_79:                               ;   in Loop: Header=BB6_71 Depth=1
	s_or_b64 exec, exec, s[40:41]
	v_add_co_u32_e32 v48, vcc, s51, v10
	v_addc_co_u32_e32 v49, vcc, v47, v11, vcc
	v_lshlrev_b64 v[0:1], 4, v[8:9]
	v_add_co_u32_e32 v50, vcc, s47, v0
	v_addc_co_u32_e32 v51, vcc, v41, v1, vcc
	global_load_dwordx4 v[8:11], v[48:49], off
	global_load_dwordx4 v[0:3], v[50:51], off
	s_waitcnt vmcnt(2)
	v_cmp_gt_i32_e32 vcc, 0, v4
	v_cndmask_b32_e64 v29, v43, 0, vcc
	v_xor_b32_e32 v4, v29, v4
	v_and_b32_e32 v29, 0xfff00000, v4
	v_cmp_eq_u32_e32 vcc, v29, v27
	s_and_saveexec_b64 s[40:41], vcc
	s_cbranch_execz .LBB6_81
; %bb.80:                               ;   in Loop: Header=BB6_71 Depth=1
	v_lshrrev_b32_e32 v4, 6, v4
	v_and_b32_e32 v4, 0x3ffc, v4
	ds_add_u32 v4, v46 offset:17536
.LBB6_81:                               ;   in Loop: Header=BB6_71 Depth=1
	s_or_b64 exec, exec, s[40:41]
	v_cmp_gt_i32_e32 vcc, 0, v5
	v_cndmask_b32_e64 v4, v43, 0, vcc
	v_xor_b32_e32 v4, v4, v5
	v_and_b32_e32 v5, 0xfff00000, v4
	v_cmp_eq_u32_e32 vcc, v5, v27
	s_and_saveexec_b64 s[40:41], vcc
	s_cbranch_execz .LBB6_83
; %bb.82:                               ;   in Loop: Header=BB6_71 Depth=1
	v_lshrrev_b32_e32 v4, 6, v4
	v_and_b32_e32 v4, 0x3ffc, v4
	ds_add_u32 v4, v46 offset:17536
.LBB6_83:                               ;   in Loop: Header=BB6_71 Depth=1
	s_or_b64 exec, exec, s[40:41]
	;; [unrolled: 13-line block ×4, first 2 shown]
	s_waitcnt vmcnt(1)
	v_cmp_gt_i32_e32 vcc, 0, v8
	v_cndmask_b32_e64 v4, v43, 0, vcc
	v_xor_b32_e32 v4, v4, v8
	v_and_b32_e32 v5, 0xfff00000, v4
	v_cmp_eq_u32_e32 vcc, v5, v27
	s_and_saveexec_b64 s[40:41], vcc
	s_cbranch_execz .LBB6_89
; %bb.88:                               ;   in Loop: Header=BB6_71 Depth=1
	v_lshrrev_b32_e32 v4, 6, v4
	v_and_b32_e32 v4, 0x3ffc, v4
	ds_add_u32 v4, v46 offset:17536
.LBB6_89:                               ;   in Loop: Header=BB6_71 Depth=1
	s_or_b64 exec, exec, s[40:41]
	v_cmp_gt_i32_e32 vcc, 0, v9
	v_cndmask_b32_e64 v4, v43, 0, vcc
	v_xor_b32_e32 v4, v4, v9
	v_and_b32_e32 v5, 0xfff00000, v4
	v_cmp_eq_u32_e32 vcc, v5, v27
	s_and_saveexec_b64 s[40:41], vcc
	s_cbranch_execz .LBB6_91
; %bb.90:                               ;   in Loop: Header=BB6_71 Depth=1
	v_lshrrev_b32_e32 v4, 6, v4
	v_and_b32_e32 v4, 0x3ffc, v4
	ds_add_u32 v4, v46 offset:17536
.LBB6_91:                               ;   in Loop: Header=BB6_71 Depth=1
	s_or_b64 exec, exec, s[40:41]
	;; [unrolled: 13-line block ×4, first 2 shown]
	s_waitcnt vmcnt(0)
	v_cmp_gt_i32_e32 vcc, 0, v0
	v_cndmask_b32_e64 v4, v43, 0, vcc
	v_xor_b32_e32 v0, v4, v0
	v_and_b32_e32 v4, 0xfff00000, v0
	v_cmp_eq_u32_e32 vcc, v4, v27
	s_and_saveexec_b64 s[40:41], vcc
	s_cbranch_execz .LBB6_97
; %bb.96:                               ;   in Loop: Header=BB6_71 Depth=1
	v_lshrrev_b32_e32 v0, 6, v0
	v_and_b32_e32 v0, 0x3ffc, v0
	ds_add_u32 v0, v46 offset:17536
.LBB6_97:                               ;   in Loop: Header=BB6_71 Depth=1
	s_or_b64 exec, exec, s[40:41]
	v_cmp_gt_i32_e32 vcc, 0, v1
	v_cndmask_b32_e64 v0, v43, 0, vcc
	v_xor_b32_e32 v0, v0, v1
	v_and_b32_e32 v1, 0xfff00000, v0
	v_cmp_eq_u32_e32 vcc, v1, v27
	s_and_saveexec_b64 s[40:41], vcc
	s_cbranch_execz .LBB6_99
; %bb.98:                               ;   in Loop: Header=BB6_71 Depth=1
	v_lshrrev_b32_e32 v0, 6, v0
	v_and_b32_e32 v0, 0x3ffc, v0
	ds_add_u32 v0, v46 offset:17536
.LBB6_99:                               ;   in Loop: Header=BB6_71 Depth=1
	s_or_b64 exec, exec, s[40:41]
	v_cmp_gt_i32_e32 vcc, 0, v2
	v_cndmask_b32_e64 v0, v43, 0, vcc
	v_xor_b32_e32 v0, v0, v2
	v_and_b32_e32 v1, 0xfff00000, v0
	v_cmp_eq_u32_e32 vcc, v1, v27
	s_and_saveexec_b64 s[40:41], vcc
	s_cbranch_execz .LBB6_101
; %bb.100:                              ;   in Loop: Header=BB6_71 Depth=1
	v_lshrrev_b32_e32 v0, 6, v0
	v_and_b32_e32 v0, 0x3ffc, v0
	ds_add_u32 v0, v46 offset:17536
.LBB6_101:                              ;   in Loop: Header=BB6_71 Depth=1
	s_or_b64 exec, exec, s[40:41]
	v_cmp_gt_i32_e32 vcc, 0, v3
	v_cndmask_b32_e64 v0, v43, 0, vcc
	v_xor_b32_e32 v0, v0, v3
	v_and_b32_e32 v1, 0xfff00000, v0
	v_cmp_eq_u32_e32 vcc, v1, v27
	s_and_saveexec_b64 s[40:41], vcc
	s_cbranch_execz .LBB6_70
; %bb.102:                              ;   in Loop: Header=BB6_71 Depth=1
	v_lshrrev_b32_e32 v0, 6, v0
	v_and_b32_e32 v0, 0x3ffc, v0
	ds_add_u32 v0, v46 offset:17536
	s_branch .LBB6_70
.LBB6_103:
	s_or_b64 exec, exec, s[34:35]
.LBB6_104:
	s_or_b64 exec, exec, s[20:21]
	v_cmp_gt_i32_e32 vcc, s28, v28
	s_and_saveexec_b64 s[20:21], vcc
	s_cbranch_execz .LBB6_115
; %bb.105:
	s_mov_b64 s[34:35], 0
	v_mov_b32_e32 v4, s48
	v_bfrev_b32_e32 v5, -2
	v_mov_b32_e32 v6, 1
	s_branch .LBB6_107
.LBB6_106:                              ;   in Loop: Header=BB6_107 Depth=1
	s_or_b64 exec, exec, s[40:41]
	v_add_u32_e32 v28, s43, v28
	v_cmp_le_i32_e32 vcc, s28, v28
	s_or_b64 s[34:35], vcc, s[34:35]
	s_andn2_b64 exec, exec, s[34:35]
	s_cbranch_execz .LBB6_115
.LBB6_107:                              ; =>This Inner Loop Header: Depth=1
	v_ashrrev_i32_e32 v29, 31, v28
	v_lshlrev_b64 v[0:1], 4, v[28:29]
	v_add_co_u32_e32 v0, vcc, s47, v0
	v_addc_co_u32_e32 v1, vcc, v4, v1, vcc
	global_load_dwordx4 v[0:3], v[0:1], off
	s_waitcnt vmcnt(0)
	v_cmp_gt_i32_e32 vcc, 0, v0
	v_cndmask_b32_e64 v7, v5, 0, vcc
	v_xor_b32_e32 v0, v7, v0
	v_and_b32_e32 v7, 0xfff00000, v0
	s_waitcnt lgkmcnt(0)
	v_cmp_eq_u32_e32 vcc, v7, v27
	s_and_saveexec_b64 s[40:41], vcc
	s_cbranch_execz .LBB6_109
; %bb.108:                              ;   in Loop: Header=BB6_107 Depth=1
	v_lshrrev_b32_e32 v0, 6, v0
	v_and_b32_e32 v0, 0x3ffc, v0
	ds_add_u32 v0, v6 offset:17536
.LBB6_109:                              ;   in Loop: Header=BB6_107 Depth=1
	s_or_b64 exec, exec, s[40:41]
	v_cmp_gt_i32_e32 vcc, 0, v1
	v_cndmask_b32_e64 v0, v5, 0, vcc
	v_xor_b32_e32 v0, v0, v1
	v_and_b32_e32 v1, 0xfff00000, v0
	v_cmp_eq_u32_e32 vcc, v1, v27
	s_and_saveexec_b64 s[40:41], vcc
	s_cbranch_execz .LBB6_111
; %bb.110:                              ;   in Loop: Header=BB6_107 Depth=1
	v_lshrrev_b32_e32 v0, 6, v0
	v_and_b32_e32 v0, 0x3ffc, v0
	ds_add_u32 v0, v6 offset:17536
.LBB6_111:                              ;   in Loop: Header=BB6_107 Depth=1
	s_or_b64 exec, exec, s[40:41]
	v_cmp_gt_i32_e32 vcc, 0, v2
	v_cndmask_b32_e64 v0, v5, 0, vcc
	v_xor_b32_e32 v0, v0, v2
	v_and_b32_e32 v1, 0xfff00000, v0
	;; [unrolled: 13-line block ×3, first 2 shown]
	v_cmp_eq_u32_e32 vcc, v1, v27
	s_and_saveexec_b64 s[40:41], vcc
	s_cbranch_execz .LBB6_106
; %bb.114:                              ;   in Loop: Header=BB6_107 Depth=1
	v_lshrrev_b32_e32 v0, 6, v0
	v_and_b32_e32 v0, 0x3ffc, v0
	ds_add_u32 v0, v6 offset:17536
	s_branch .LBB6_106
.LBB6_115:
	s_or_b64 exec, exec, s[20:21]
	s_and_saveexec_b64 s[20:21], s[10:11]
	s_cbranch_execz .LBB6_118
; %bb.116:
	global_load_dword v0, v[22:23], off
	v_bfrev_b32_e32 v1, -2
	s_waitcnt vmcnt(0)
	v_cmp_gt_i32_e32 vcc, 0, v0
	v_cndmask_b32_e64 v1, v1, 0, vcc
	v_xor_b32_e32 v0, v1, v0
	v_and_b32_e32 v1, 0xfff00000, v0
	s_waitcnt lgkmcnt(0)
	v_cmp_eq_u32_e32 vcc, v1, v27
	s_and_b64 exec, exec, vcc
	s_cbranch_execz .LBB6_118
; %bb.117:
	v_lshrrev_b32_e32 v0, 6, v0
	v_and_b32_e32 v0, 0x3ffc, v0
	v_mov_b32_e32 v1, 1
	ds_add_u32 v0, v1 offset:17536
.LBB6_118:
	s_or_b64 exec, exec, s[20:21]
	s_and_saveexec_b64 s[20:21], s[14:15]
	s_cbranch_execz .LBB6_121
; %bb.119:
	global_load_dword v0, v[24:25], off
	v_bfrev_b32_e32 v1, -2
	s_waitcnt vmcnt(0)
	v_cmp_gt_i32_e32 vcc, 0, v0
	v_cndmask_b32_e64 v1, v1, 0, vcc
	v_xor_b32_e32 v0, v1, v0
	v_and_b32_e32 v1, 0xfff00000, v0
	s_waitcnt lgkmcnt(0)
	v_cmp_eq_u32_e32 vcc, v1, v27
	s_and_b64 exec, exec, vcc
	s_cbranch_execz .LBB6_121
; %bb.120:
	v_lshrrev_b32_e32 v0, 6, v0
	v_and_b32_e32 v0, 0x3ffc, v0
	v_mov_b32_e32 v1, 1
	ds_add_u32 v0, v1 offset:17536
.LBB6_121:
	s_or_b64 exec, exec, s[20:21]
	s_waitcnt lgkmcnt(0)
	s_barrier
	flat_load_dword v0, v[12:13] glc
	s_waitcnt vmcnt(0)
	flat_load_dword v1, v[14:15] glc
	s_waitcnt vmcnt(0)
	flat_load_dword v2, v[16:17] glc
	s_waitcnt vmcnt(0)
	flat_load_dword v3, v[18:19] glc
	s_waitcnt vmcnt(0) lgkmcnt(0)
	ds_write_b32 v35, v0
	ds_write_b32 v36, v1 offset:4096
	ds_write_b32 v37, v2 offset:8192
	ds_write_b32 v38, v3 offset:12288
	s_waitcnt lgkmcnt(0)
	s_barrier
	ds_read2_b32 v[2:3], v39 offset1:1
	ds_read2_b32 v[0:1], v39 offset0:2 offset1:3
	s_waitcnt lgkmcnt(0)
	s_barrier
	v_add_u32_e32 v4, v3, v2
	v_add3_u32 v4, v4, v0, v1
	ds_write_b32 v35, v4
	s_waitcnt lgkmcnt(0)
	s_barrier
	s_and_saveexec_b64 s[20:21], s[16:17]
	s_cbranch_execz .LBB6_123
; %bb.122:
	ds_read2_b32 v[6:7], v32 offset1:1
	ds_read2_b32 v[8:9], v32 offset0:2 offset1:3
	ds_read2_b32 v[10:11], v32 offset0:4 offset1:5
	;; [unrolled: 1-line block ×7, first 2 shown]
	s_waitcnt lgkmcnt(7)
	v_add_u32_e32 v5, v7, v6
	s_waitcnt lgkmcnt(6)
	v_add3_u32 v5, v5, v8, v9
	s_waitcnt lgkmcnt(5)
	v_add3_u32 v5, v5, v10, v11
	;; [unrolled: 2-line block ×5, first 2 shown]
	v_mbcnt_lo_u32_b32 v27, -1, 0
	s_waitcnt lgkmcnt(1)
	v_add3_u32 v5, v5, v48, v49
	v_mbcnt_hi_u32_b32 v27, -1, v27
	s_waitcnt lgkmcnt(0)
	v_add3_u32 v5, v5, v50, v51
	v_and_b32_e32 v41, 15, v27
	v_cmp_ne_u32_e32 vcc, 0, v41
	v_mov_b32_dpp v52, v5 row_shr:1 row_mask:0xf bank_mask:0xf
	v_cndmask_b32_e32 v52, 0, v52, vcc
	v_add_u32_e32 v5, v52, v5
	v_cmp_lt_u32_e32 vcc, 1, v41
	s_nop 0
	v_mov_b32_dpp v52, v5 row_shr:2 row_mask:0xf bank_mask:0xf
	v_cndmask_b32_e32 v52, 0, v52, vcc
	v_add_u32_e32 v5, v5, v52
	v_cmp_lt_u32_e32 vcc, 3, v41
	s_nop 0
	v_mov_b32_dpp v52, v5 row_shr:4 row_mask:0xf bank_mask:0xf
	v_cndmask_b32_e32 v52, 0, v52, vcc
	v_add_u32_e32 v5, v5, v52
	v_cmp_lt_u32_e32 vcc, 7, v41
	s_nop 0
	v_mov_b32_dpp v52, v5 row_shr:8 row_mask:0xf bank_mask:0xf
	v_cndmask_b32_e32 v41, 0, v52, vcc
	v_add_u32_e32 v5, v5, v41
	v_bfe_i32 v52, v27, 4, 1
	v_cmp_lt_u32_e32 vcc, 31, v27
	v_mov_b32_dpp v41, v5 row_bcast:15 row_mask:0xf bank_mask:0xf
	v_and_b32_e32 v41, v52, v41
	v_add_u32_e32 v5, v5, v41
	v_and_b32_e32 v52, 64, v27
	s_nop 0
	v_mov_b32_dpp v41, v5 row_bcast:31 row_mask:0xf bank_mask:0xf
	v_cndmask_b32_e32 v41, 0, v41, vcc
	v_add_u32_e32 v5, v5, v41
	v_add_u32_e32 v41, -1, v27
	v_cmp_lt_i32_e32 vcc, v41, v52
	v_cndmask_b32_e32 v27, v41, v27, vcc
	v_lshlrev_b32_e32 v27, 2, v27
	ds_bpermute_b32 v5, v27, v5
	s_waitcnt lgkmcnt(0)
	v_add_u32_e32 v5, v5, v6
	v_cndmask_b32_e64 v4, v5, v4, s[6:7]
	v_add_u32_e32 v5, v4, v7
	ds_write2_b32 v32, v4, v5 offset1:1
	v_add_u32_e32 v4, v5, v8
	v_add_u32_e32 v5, v4, v9
	ds_write2_b32 v32, v4, v5 offset0:2 offset1:3
	v_add_u32_e32 v4, v5, v10
	v_add_u32_e32 v5, v4, v11
	ds_write2_b32 v32, v4, v5 offset0:4 offset1:5
	;; [unrolled: 3-line block ×7, first 2 shown]
.LBB6_123:
	s_or_b64 exec, exec, s[20:21]
	v_mov_b32_e32 v4, 0
	v_mov_b32_e32 v5, 0
	s_waitcnt lgkmcnt(0)
	s_barrier
	s_and_saveexec_b64 s[20:21], s[8:9]
	s_cbranch_execz .LBB6_125
; %bb.124:
	ds_read_b32 v5, v40
.LBB6_125:
	s_or_b64 exec, exec, s[20:21]
	s_waitcnt lgkmcnt(0)
	v_add_u32_e32 v2, v5, v2
	v_add_u32_e32 v3, v2, v3
	;; [unrolled: 1-line block ×4, first 2 shown]
	s_barrier
	ds_write2_b32 v39, v2, v3 offset1:1
	ds_write2_b32 v39, v0, v1 offset0:2 offset1:3
	s_waitcnt lgkmcnt(0)
	s_barrier
	ds_read_b32 v0, v35
	ds_read_b32 v1, v36 offset:4096
	ds_read_b32 v2, v37 offset:8192
	;; [unrolled: 1-line block ×3, first 2 shown]
	s_waitcnt lgkmcnt(3)
	flat_store_dword v[12:13], v0
	s_waitcnt vmcnt(0) lgkmcnt(0)
	flat_store_dword v[14:15], v1
	s_waitcnt vmcnt(0)
	flat_store_dword v[16:17], v2
	s_waitcnt vmcnt(0)
	flat_store_dword v[18:19], v3
	s_waitcnt vmcnt(0) lgkmcnt(0)
	s_barrier
	ds_read_b32 v0, v4 offset:12
	v_lshlrev_b32_e32 v1, 8, v44
	s_lshl_b32 s40, s43, 8
	s_mov_b64 s[34:35], 0
	s_movk_i32 s41, 0xfff
	v_mov_b32_e32 v2, v33
	v_mov_b32_e32 v3, v44
	s_branch .LBB6_127
.LBB6_126:                              ;   in Loop: Header=BB6_127 Depth=1
	s_or_b64 exec, exec, s[20:21]
	v_add_u32_e32 v3, s43, v3
	v_cmp_lt_u32_e32 vcc, s41, v3
	v_add_u32_e32 v1, s40, v1
	s_or_b64 s[34:35], vcc, s[34:35]
	v_add_u32_e32 v2, s46, v2
	s_andn2_b64 exec, exec, s[34:35]
	s_cbranch_execz .LBB6_131
.LBB6_127:                              ; =>This Inner Loop Header: Depth=1
	v_cmp_ne_u32_e32 vcc, 0, v3
	v_mov_b32_e32 v5, 0
	s_and_saveexec_b64 s[20:21], vcc
	s_cbranch_execz .LBB6_129
; %bb.128:                              ;   in Loop: Header=BB6_127 Depth=1
	ds_read_b32 v5, v2
.LBB6_129:                              ;   in Loop: Header=BB6_127 Depth=1
	s_or_b64 exec, exec, s[20:21]
	ds_read_b32 v6, v2 offset:4
	s_waitcnt lgkmcnt(1)
	v_cmp_lt_i32_e32 vcc, v5, v26
	s_waitcnt lgkmcnt(0)
	v_cmp_ge_i32_e64 s[20:21], v6, v26
	s_and_b64 s[54:55], vcc, s[20:21]
	s_and_saveexec_b64 s[20:21], s[54:55]
	s_cbranch_execz .LBB6_126
; %bb.130:                              ;   in Loop: Header=BB6_127 Depth=1
	v_sub_u32_e32 v7, v6, v5
	v_sub_u32_e32 v6, v26, v5
	v_or_b32_e32 v0, v0, v1
	ds_write_b64 v4, v[6:7]
	ds_write_b32 v4, v0 offset:12
	s_branch .LBB6_126
.LBB6_131:
	s_or_b64 exec, exec, s[34:35]
	s_and_saveexec_b64 s[20:21], s[6:7]
	s_cbranch_execz .LBB6_133
; %bb.132:
	v_mov_b32_e32 v0, 0
	ds_read_b32 v1, v0 offset:4
	s_waitcnt lgkmcnt(0)
	ds_write_b32 v0, v1 offset:8
.LBB6_133:
	s_or_b64 exec, exec, s[20:21]
	v_mov_b32_e32 v0, 0
	s_waitcnt lgkmcnt(0)
	s_barrier
	ds_read_b64 v[26:27], v0
	s_mov_b32 s20, 1
	s_waitcnt lgkmcnt(0)
	v_cmp_eq_u32_e32 vcc, v27, v26
	s_cbranch_vccnz .LBB6_216
; %bb.134:
	s_mov_b64 s[34:35], -1
	v_mov_b32_e32 v0, v44
	s_and_saveexec_b64 s[20:21], s[30:31]
	s_cbranch_execz .LBB6_145
; %bb.135:
	v_add_u32_e32 v1, -1, v34
	v_lshrrev_b32_e32 v0, 1, v1
	v_add_u32_e32 v0, 1, v0
	v_cmp_lt_u32_e32 vcc, 13, v1
	v_mov_b32_e32 v4, 0
	s_and_saveexec_b64 s[30:31], vcc
	s_cbranch_execz .LBB6_139
; %bb.136:
	v_and_b32_e32 v1, -8, v0
	v_add_u32_e32 v2, 0x4480, v30
	s_mov_b32 s40, 0
	s_mov_b64 s[34:35], 0
	v_mov_b32_e32 v3, 0
.LBB6_137:                              ; =>This Inner Loop Header: Depth=1
	v_add_u32_e32 v1, -8, v1
	s_add_i32 s40, s40, 16
	v_cmp_eq_u32_e32 vcc, 0, v1
	ds_write2_b32 v2, v3, v3 offset1:1
	ds_write2_b32 v2, v3, v3 offset0:2 offset1:3
	ds_write2_b32 v2, v3, v3 offset0:4 offset1:5
	;; [unrolled: 1-line block ×7, first 2 shown]
	v_add_u32_e32 v2, 64, v2
	s_or_b64 s[34:35], vcc, s[34:35]
	v_mov_b32_e32 v4, s40
	s_andn2_b64 exec, exec, s[34:35]
	s_cbranch_execnz .LBB6_137
; %bb.138:
	s_or_b64 exec, exec, s[34:35]
.LBB6_139:
	s_or_b64 exec, exec, s[30:31]
	v_and_b32_e32 v0, 7, v0
	v_cmp_ne_u32_e32 vcc, 0, v0
	s_and_saveexec_b64 s[30:31], vcc
	s_cbranch_execz .LBB6_142
; %bb.140:
	v_lshlrev_b32_e32 v1, 2, v4
	s_movk_i32 s34, 0x4480
	v_add3_u32 v1, v1, v30, s34
	s_mov_b64 s[34:35], 0
	v_mov_b32_e32 v2, 0
.LBB6_141:                              ; =>This Inner Loop Header: Depth=1
	v_add_u32_e32 v0, -1, v0
	v_cmp_eq_u32_e32 vcc, 0, v0
	ds_write2_b32 v1, v2, v2 offset1:1
	s_or_b64 s[34:35], vcc, s[34:35]
	v_add_u32_e32 v1, 8, v1
	s_andn2_b64 exec, exec, s[34:35]
	s_cbranch_execnz .LBB6_141
.LBB6_142:
	s_or_b64 exec, exec, s[30:31]
	v_and_b32_e32 v1, -2, v31
	v_cmp_ne_u32_e32 vcc, v31, v1
	s_mov_b64 s[30:31], 0
                                        ; implicit-def: $vgpr0
                                        ; implicit-def: $vgpr30
	s_and_saveexec_b64 s[34:35], vcc
; %bb.143:
	v_add_u32_e32 v0, v44, v1
	s_mov_b64 s[30:31], exec
	v_lshlrev_b32_e32 v30, 2, v0
; %bb.144:
	s_or_b64 exec, exec, s[34:35]
	s_orn2_b64 s[34:35], s[30:31], exec
.LBB6_145:
	s_or_b64 exec, exec, s[20:21]
	s_and_saveexec_b64 s[20:21], s[34:35]
	s_cbranch_execz .LBB6_148
; %bb.146:
	v_add_u32_e32 v1, 0x4480, v30
	s_mov_b64 s[30:31], 0
	v_mov_b32_e32 v2, 0
	s_movk_i32 s34, 0xfff
.LBB6_147:                              ; =>This Inner Loop Header: Depth=1
	v_add_u32_e32 v0, s43, v0
	v_cmp_lt_u32_e32 vcc, s34, v0
	ds_write_b32 v1, v2
	s_or_b64 s[30:31], vcc, s[30:31]
	v_add_u32_e32 v1, s46, v1
	s_andn2_b64 exec, exec, s[30:31]
	s_cbranch_execnz .LBB6_147
.LBB6_148:
	s_or_b64 exec, exec, s[20:21]
	s_and_saveexec_b64 s[20:21], s[6:7]
	s_cbranch_execz .LBB6_150
; %bb.149:
	v_mov_b32_e32 v0, 0
	ds_write_b32 v0, v0 offset:128
.LBB6_150:
	s_or_b64 exec, exec, s[20:21]
	v_mov_b32_e32 v0, 0
	s_waitcnt lgkmcnt(0)
	s_barrier
	ds_read_b32 v27, v0 offset:12
	v_mov_b32_e32 v28, v44
	s_and_saveexec_b64 s[20:21], s[18:19]
	s_cbranch_execz .LBB6_186
; %bb.151:
	s_mov_b64 s[18:19], 0
	v_mov_b32_e32 v30, s48
	v_mov_b32_e32 v31, s52
	v_bfrev_b32_e32 v34, -2
	v_mov_b32_e32 v41, 1
	v_mov_b32_e32 v42, s53
	v_pk_mov_b32 v[28:29], v[44:45], v[44:45] op_sel:[0,1]
	s_branch .LBB6_153
.LBB6_152:                              ;   in Loop: Header=BB6_153 Depth=1
	s_or_b64 exec, exec, s[30:31]
	v_add_u32_e32 v28, s46, v28
	v_ashrrev_i32_e32 v29, 31, v28
	v_add_co_u32_e32 v20, vcc, s49, v28
	v_addc_co_u32_e32 v21, vcc, 0, v29, vcc
	v_cmp_le_u64_e32 vcc, s[28:29], v[20:21]
	s_or_b64 s[18:19], vcc, s[18:19]
	s_andn2_b64 exec, exec, s[18:19]
	s_cbranch_execz .LBB6_185
.LBB6_153:                              ; =>This Inner Loop Header: Depth=1
	v_lshlrev_b64 v[8:9], 4, v[28:29]
	v_add_co_u32_e32 v0, vcc, s47, v8
	v_addc_co_u32_e32 v1, vcc, v30, v9, vcc
	global_load_dwordx4 v[0:3], v[0:1], off
	v_add_co_u32_e32 v4, vcc, s50, v8
	v_addc_co_u32_e32 v5, vcc, v31, v9, vcc
	global_load_dwordx4 v[4:7], v[4:5], off
	s_waitcnt vmcnt(1)
	v_cmp_gt_i32_e32 vcc, 0, v0
	v_cndmask_b32_e64 v10, v34, 0, vcc
	v_xor_b32_e32 v0, v10, v0
	v_and_b32_e32 v10, 0xffffff00, v0
	s_waitcnt lgkmcnt(0)
	v_cmp_eq_u32_e32 vcc, v10, v27
	s_and_saveexec_b64 s[30:31], vcc
	s_cbranch_execz .LBB6_155
; %bb.154:                              ;   in Loop: Header=BB6_153 Depth=1
	v_and_b32_e32 v0, 0xfff, v0
	v_lshlrev_b32_e32 v0, 2, v0
	ds_add_u32 v0, v41 offset:17536
.LBB6_155:                              ;   in Loop: Header=BB6_153 Depth=1
	s_or_b64 exec, exec, s[30:31]
	v_cmp_gt_i32_e32 vcc, 0, v1
	v_cndmask_b32_e64 v0, v34, 0, vcc
	v_xor_b32_e32 v0, v0, v1
	v_and_b32_e32 v1, 0xffffff00, v0
	v_cmp_eq_u32_e32 vcc, v1, v27
	s_and_saveexec_b64 s[30:31], vcc
	s_cbranch_execz .LBB6_157
; %bb.156:                              ;   in Loop: Header=BB6_153 Depth=1
	v_and_b32_e32 v0, 0xfff, v0
	v_lshlrev_b32_e32 v0, 2, v0
	ds_add_u32 v0, v41 offset:17536
.LBB6_157:                              ;   in Loop: Header=BB6_153 Depth=1
	s_or_b64 exec, exec, s[30:31]
	v_cmp_gt_i32_e32 vcc, 0, v2
	v_cndmask_b32_e64 v0, v34, 0, vcc
	v_xor_b32_e32 v0, v0, v2
	v_and_b32_e32 v1, 0xffffff00, v0
	;; [unrolled: 13-line block ×3, first 2 shown]
	v_cmp_eq_u32_e32 vcc, v1, v27
	s_and_saveexec_b64 s[30:31], vcc
	s_cbranch_execz .LBB6_161
; %bb.160:                              ;   in Loop: Header=BB6_153 Depth=1
	v_and_b32_e32 v0, 0xfff, v0
	v_lshlrev_b32_e32 v0, 2, v0
	ds_add_u32 v0, v41 offset:17536
.LBB6_161:                              ;   in Loop: Header=BB6_153 Depth=1
	s_or_b64 exec, exec, s[30:31]
	v_add_co_u32_e32 v46, vcc, s51, v8
	v_addc_co_u32_e32 v47, vcc, v42, v9, vcc
	v_lshlrev_b64 v[0:1], 4, v[20:21]
	v_add_co_u32_e32 v20, vcc, s47, v0
	v_addc_co_u32_e32 v21, vcc, v30, v1, vcc
	global_load_dwordx4 v[8:11], v[46:47], off
	global_load_dwordx4 v[0:3], v[20:21], off
	s_waitcnt vmcnt(2)
	v_cmp_gt_i32_e32 vcc, 0, v4
	v_cndmask_b32_e64 v20, v34, 0, vcc
	v_xor_b32_e32 v4, v20, v4
	v_and_b32_e32 v20, 0xffffff00, v4
	v_cmp_eq_u32_e32 vcc, v20, v27
	s_and_saveexec_b64 s[30:31], vcc
	s_cbranch_execz .LBB6_163
; %bb.162:                              ;   in Loop: Header=BB6_153 Depth=1
	v_and_b32_e32 v4, 0xfff, v4
	v_lshlrev_b32_e32 v4, 2, v4
	ds_add_u32 v4, v41 offset:17536
.LBB6_163:                              ;   in Loop: Header=BB6_153 Depth=1
	s_or_b64 exec, exec, s[30:31]
	v_cmp_gt_i32_e32 vcc, 0, v5
	v_cndmask_b32_e64 v4, v34, 0, vcc
	v_xor_b32_e32 v4, v4, v5
	v_and_b32_e32 v5, 0xffffff00, v4
	v_cmp_eq_u32_e32 vcc, v5, v27
	s_and_saveexec_b64 s[30:31], vcc
	s_cbranch_execz .LBB6_165
; %bb.164:                              ;   in Loop: Header=BB6_153 Depth=1
	v_and_b32_e32 v4, 0xfff, v4
	v_lshlrev_b32_e32 v4, 2, v4
	ds_add_u32 v4, v41 offset:17536
.LBB6_165:                              ;   in Loop: Header=BB6_153 Depth=1
	s_or_b64 exec, exec, s[30:31]
	;; [unrolled: 13-line block ×4, first 2 shown]
	s_waitcnt vmcnt(1)
	v_cmp_gt_i32_e32 vcc, 0, v8
	v_cndmask_b32_e64 v4, v34, 0, vcc
	v_xor_b32_e32 v4, v4, v8
	v_and_b32_e32 v5, 0xffffff00, v4
	v_cmp_eq_u32_e32 vcc, v5, v27
	s_and_saveexec_b64 s[30:31], vcc
	s_cbranch_execz .LBB6_171
; %bb.170:                              ;   in Loop: Header=BB6_153 Depth=1
	v_and_b32_e32 v4, 0xfff, v4
	v_lshlrev_b32_e32 v4, 2, v4
	ds_add_u32 v4, v41 offset:17536
.LBB6_171:                              ;   in Loop: Header=BB6_153 Depth=1
	s_or_b64 exec, exec, s[30:31]
	v_cmp_gt_i32_e32 vcc, 0, v9
	v_cndmask_b32_e64 v4, v34, 0, vcc
	v_xor_b32_e32 v4, v4, v9
	v_and_b32_e32 v5, 0xffffff00, v4
	v_cmp_eq_u32_e32 vcc, v5, v27
	s_and_saveexec_b64 s[30:31], vcc
	s_cbranch_execz .LBB6_173
; %bb.172:                              ;   in Loop: Header=BB6_153 Depth=1
	v_and_b32_e32 v4, 0xfff, v4
	v_lshlrev_b32_e32 v4, 2, v4
	ds_add_u32 v4, v41 offset:17536
.LBB6_173:                              ;   in Loop: Header=BB6_153 Depth=1
	s_or_b64 exec, exec, s[30:31]
	;; [unrolled: 13-line block ×4, first 2 shown]
	s_waitcnt vmcnt(0)
	v_cmp_gt_i32_e32 vcc, 0, v0
	v_cndmask_b32_e64 v4, v34, 0, vcc
	v_xor_b32_e32 v0, v4, v0
	v_and_b32_e32 v4, 0xffffff00, v0
	v_cmp_eq_u32_e32 vcc, v4, v27
	s_and_saveexec_b64 s[30:31], vcc
	s_cbranch_execz .LBB6_179
; %bb.178:                              ;   in Loop: Header=BB6_153 Depth=1
	v_and_b32_e32 v0, 0xfff, v0
	v_lshlrev_b32_e32 v0, 2, v0
	ds_add_u32 v0, v41 offset:17536
.LBB6_179:                              ;   in Loop: Header=BB6_153 Depth=1
	s_or_b64 exec, exec, s[30:31]
	v_cmp_gt_i32_e32 vcc, 0, v1
	v_cndmask_b32_e64 v0, v34, 0, vcc
	v_xor_b32_e32 v0, v0, v1
	v_and_b32_e32 v1, 0xffffff00, v0
	v_cmp_eq_u32_e32 vcc, v1, v27
	s_and_saveexec_b64 s[30:31], vcc
	s_cbranch_execz .LBB6_181
; %bb.180:                              ;   in Loop: Header=BB6_153 Depth=1
	v_and_b32_e32 v0, 0xfff, v0
	v_lshlrev_b32_e32 v0, 2, v0
	ds_add_u32 v0, v41 offset:17536
.LBB6_181:                              ;   in Loop: Header=BB6_153 Depth=1
	s_or_b64 exec, exec, s[30:31]
	;; [unrolled: 13-line block ×3, first 2 shown]
	v_cmp_gt_i32_e32 vcc, 0, v3
	v_cndmask_b32_e64 v0, v34, 0, vcc
	v_xor_b32_e32 v0, v0, v3
	v_and_b32_e32 v1, 0xffffff00, v0
	v_cmp_eq_u32_e32 vcc, v1, v27
	s_and_saveexec_b64 s[30:31], vcc
	s_cbranch_execz .LBB6_152
; %bb.184:                              ;   in Loop: Header=BB6_153 Depth=1
	v_and_b32_e32 v0, 0xfff, v0
	v_lshlrev_b32_e32 v0, 2, v0
	ds_add_u32 v0, v41 offset:17536
	s_branch .LBB6_152
.LBB6_185:
	s_or_b64 exec, exec, s[18:19]
.LBB6_186:
	s_or_b64 exec, exec, s[20:21]
	v_cmp_gt_i32_e32 vcc, s28, v28
	s_and_saveexec_b64 s[18:19], vcc
	s_cbranch_execz .LBB6_197
; %bb.187:
	s_mov_b64 s[20:21], 0
	v_mov_b32_e32 v4, s48
	v_bfrev_b32_e32 v5, -2
	v_mov_b32_e32 v6, 1
	s_branch .LBB6_189
.LBB6_188:                              ;   in Loop: Header=BB6_189 Depth=1
	s_or_b64 exec, exec, s[30:31]
	v_add_u32_e32 v28, s43, v28
	v_cmp_le_i32_e32 vcc, s28, v28
	s_or_b64 s[20:21], vcc, s[20:21]
	s_andn2_b64 exec, exec, s[20:21]
	s_cbranch_execz .LBB6_197
.LBB6_189:                              ; =>This Inner Loop Header: Depth=1
	v_ashrrev_i32_e32 v29, 31, v28
	v_lshlrev_b64 v[0:1], 4, v[28:29]
	v_add_co_u32_e32 v0, vcc, s47, v0
	v_addc_co_u32_e32 v1, vcc, v4, v1, vcc
	global_load_dwordx4 v[0:3], v[0:1], off
	s_waitcnt vmcnt(0)
	v_cmp_gt_i32_e32 vcc, 0, v0
	v_cndmask_b32_e64 v7, v5, 0, vcc
	v_xor_b32_e32 v0, v7, v0
	v_and_b32_e32 v7, 0xffffff00, v0
	s_waitcnt lgkmcnt(0)
	v_cmp_eq_u32_e32 vcc, v7, v27
	s_and_saveexec_b64 s[30:31], vcc
	s_cbranch_execz .LBB6_191
; %bb.190:                              ;   in Loop: Header=BB6_189 Depth=1
	v_and_b32_e32 v0, 0xfff, v0
	v_lshlrev_b32_e32 v0, 2, v0
	ds_add_u32 v0, v6 offset:17536
.LBB6_191:                              ;   in Loop: Header=BB6_189 Depth=1
	s_or_b64 exec, exec, s[30:31]
	v_cmp_gt_i32_e32 vcc, 0, v1
	v_cndmask_b32_e64 v0, v5, 0, vcc
	v_xor_b32_e32 v0, v0, v1
	v_and_b32_e32 v1, 0xffffff00, v0
	v_cmp_eq_u32_e32 vcc, v1, v27
	s_and_saveexec_b64 s[30:31], vcc
	s_cbranch_execz .LBB6_193
; %bb.192:                              ;   in Loop: Header=BB6_189 Depth=1
	v_and_b32_e32 v0, 0xfff, v0
	v_lshlrev_b32_e32 v0, 2, v0
	ds_add_u32 v0, v6 offset:17536
.LBB6_193:                              ;   in Loop: Header=BB6_189 Depth=1
	s_or_b64 exec, exec, s[30:31]
	v_cmp_gt_i32_e32 vcc, 0, v2
	v_cndmask_b32_e64 v0, v5, 0, vcc
	v_xor_b32_e32 v0, v0, v2
	v_and_b32_e32 v1, 0xffffff00, v0
	;; [unrolled: 13-line block ×3, first 2 shown]
	v_cmp_eq_u32_e32 vcc, v1, v27
	s_and_saveexec_b64 s[30:31], vcc
	s_cbranch_execz .LBB6_188
; %bb.196:                              ;   in Loop: Header=BB6_189 Depth=1
	v_and_b32_e32 v0, 0xfff, v0
	v_lshlrev_b32_e32 v0, 2, v0
	ds_add_u32 v0, v6 offset:17536
	s_branch .LBB6_188
.LBB6_197:
	s_or_b64 exec, exec, s[18:19]
	s_and_saveexec_b64 s[18:19], s[10:11]
	s_cbranch_execz .LBB6_200
; %bb.198:
	global_load_dword v0, v[22:23], off
	v_bfrev_b32_e32 v1, -2
	s_waitcnt vmcnt(0)
	v_cmp_gt_i32_e32 vcc, 0, v0
	v_cndmask_b32_e64 v1, v1, 0, vcc
	v_xor_b32_e32 v0, v1, v0
	v_and_b32_e32 v1, 0xffffff00, v0
	s_waitcnt lgkmcnt(0)
	v_cmp_eq_u32_e32 vcc, v1, v27
	s_and_b64 exec, exec, vcc
	s_cbranch_execz .LBB6_200
; %bb.199:
	v_and_b32_e32 v0, 0xfff, v0
	v_lshlrev_b32_e32 v0, 2, v0
	v_mov_b32_e32 v1, 1
	ds_add_u32 v0, v1 offset:17536
.LBB6_200:
	s_or_b64 exec, exec, s[18:19]
	s_and_saveexec_b64 s[10:11], s[14:15]
	s_cbranch_execz .LBB6_203
; %bb.201:
	global_load_dword v0, v[24:25], off
	v_bfrev_b32_e32 v1, -2
	s_waitcnt vmcnt(0)
	v_cmp_gt_i32_e32 vcc, 0, v0
	v_cndmask_b32_e64 v1, v1, 0, vcc
	v_xor_b32_e32 v0, v1, v0
	v_and_b32_e32 v1, 0xffffff00, v0
	s_waitcnt lgkmcnt(0)
	v_cmp_eq_u32_e32 vcc, v1, v27
	s_and_b64 exec, exec, vcc
	s_cbranch_execz .LBB6_203
; %bb.202:
	v_and_b32_e32 v0, 0xfff, v0
	v_lshlrev_b32_e32 v0, 2, v0
	v_mov_b32_e32 v1, 1
	ds_add_u32 v0, v1 offset:17536
.LBB6_203:
	s_or_b64 exec, exec, s[10:11]
	s_waitcnt lgkmcnt(0)
	s_barrier
	flat_load_dword v0, v[12:13] glc
	s_waitcnt vmcnt(0)
	flat_load_dword v1, v[14:15] glc
	s_waitcnt vmcnt(0)
	;; [unrolled: 2-line block ×3, first 2 shown]
	flat_load_dword v3, v[18:19] glc
	s_waitcnt vmcnt(0) lgkmcnt(0)
	ds_write_b32 v35, v0
	ds_write_b32 v36, v1 offset:4096
	ds_write_b32 v37, v2 offset:8192
	;; [unrolled: 1-line block ×3, first 2 shown]
	s_waitcnt lgkmcnt(0)
	s_barrier
	ds_read2_b32 v[2:3], v39 offset1:1
	ds_read2_b32 v[0:1], v39 offset0:2 offset1:3
	s_waitcnt lgkmcnt(0)
	s_barrier
	v_add_u32_e32 v4, v3, v2
	v_add3_u32 v4, v4, v0, v1
	ds_write_b32 v35, v4
	s_waitcnt lgkmcnt(0)
	s_barrier
	s_and_saveexec_b64 s[10:11], s[16:17]
	s_cbranch_execz .LBB6_205
; %bb.204:
	ds_read2_b32 v[6:7], v32 offset1:1
	ds_read2_b32 v[8:9], v32 offset0:2 offset1:3
	ds_read2_b32 v[10:11], v32 offset0:4 offset1:5
	;; [unrolled: 1-line block ×7, first 2 shown]
	s_waitcnt lgkmcnt(7)
	v_add_u32_e32 v5, v7, v6
	s_waitcnt lgkmcnt(6)
	v_add3_u32 v5, v5, v8, v9
	s_waitcnt lgkmcnt(5)
	v_add3_u32 v5, v5, v10, v11
	;; [unrolled: 2-line block ×5, first 2 shown]
	v_mbcnt_lo_u32_b32 v27, -1, 0
	s_waitcnt lgkmcnt(1)
	v_add3_u32 v5, v5, v28, v29
	v_mbcnt_hi_u32_b32 v27, -1, v27
	s_waitcnt lgkmcnt(0)
	v_add3_u32 v5, v5, v30, v31
	v_and_b32_e32 v34, 15, v27
	v_cmp_ne_u32_e32 vcc, 0, v34
	v_mov_b32_dpp v41, v5 row_shr:1 row_mask:0xf bank_mask:0xf
	v_cndmask_b32_e32 v41, 0, v41, vcc
	v_add_u32_e32 v5, v41, v5
	v_cmp_lt_u32_e32 vcc, 1, v34
	s_nop 0
	v_mov_b32_dpp v41, v5 row_shr:2 row_mask:0xf bank_mask:0xf
	v_cndmask_b32_e32 v41, 0, v41, vcc
	v_add_u32_e32 v5, v5, v41
	v_cmp_lt_u32_e32 vcc, 3, v34
	s_nop 0
	;; [unrolled: 5-line block ×3, first 2 shown]
	v_mov_b32_dpp v41, v5 row_shr:8 row_mask:0xf bank_mask:0xf
	v_cndmask_b32_e32 v34, 0, v41, vcc
	v_add_u32_e32 v5, v5, v34
	v_bfe_i32 v41, v27, 4, 1
	v_cmp_lt_u32_e32 vcc, 31, v27
	v_mov_b32_dpp v34, v5 row_bcast:15 row_mask:0xf bank_mask:0xf
	v_and_b32_e32 v34, v41, v34
	v_add_u32_e32 v5, v5, v34
	v_and_b32_e32 v41, 64, v27
	s_nop 0
	v_mov_b32_dpp v34, v5 row_bcast:31 row_mask:0xf bank_mask:0xf
	v_cndmask_b32_e32 v34, 0, v34, vcc
	v_add_u32_e32 v5, v5, v34
	v_add_u32_e32 v34, -1, v27
	v_cmp_lt_i32_e32 vcc, v34, v41
	v_cndmask_b32_e32 v27, v34, v27, vcc
	v_lshlrev_b32_e32 v27, 2, v27
	ds_bpermute_b32 v5, v27, v5
	s_waitcnt lgkmcnt(0)
	v_add_u32_e32 v5, v5, v6
	v_cndmask_b32_e64 v4, v5, v4, s[6:7]
	v_add_u32_e32 v5, v4, v7
	ds_write2_b32 v32, v4, v5 offset1:1
	v_add_u32_e32 v4, v5, v8
	v_add_u32_e32 v5, v4, v9
	ds_write2_b32 v32, v4, v5 offset0:2 offset1:3
	v_add_u32_e32 v4, v5, v10
	v_add_u32_e32 v5, v4, v11
	ds_write2_b32 v32, v4, v5 offset0:4 offset1:5
	;; [unrolled: 3-line block ×7, first 2 shown]
.LBB6_205:
	s_or_b64 exec, exec, s[10:11]
	v_mov_b32_e32 v4, 0
	v_mov_b32_e32 v5, 0
	s_waitcnt lgkmcnt(0)
	s_barrier
	s_and_saveexec_b64 s[10:11], s[8:9]
	s_cbranch_execz .LBB6_207
; %bb.206:
	ds_read_b32 v5, v40
.LBB6_207:
	s_or_b64 exec, exec, s[10:11]
	s_waitcnt lgkmcnt(0)
	v_add_u32_e32 v2, v5, v2
	v_add_u32_e32 v3, v2, v3
	;; [unrolled: 1-line block ×4, first 2 shown]
	s_barrier
	ds_write2_b32 v39, v2, v3 offset1:1
	ds_write2_b32 v39, v0, v1 offset0:2 offset1:3
	s_waitcnt lgkmcnt(0)
	s_barrier
	ds_read_b32 v0, v35
	ds_read_b32 v1, v36 offset:4096
	ds_read_b32 v2, v37 offset:8192
	;; [unrolled: 1-line block ×3, first 2 shown]
	s_waitcnt lgkmcnt(3)
	flat_store_dword v[12:13], v0
	s_waitcnt vmcnt(0) lgkmcnt(0)
	flat_store_dword v[14:15], v1
	s_waitcnt vmcnt(0)
	flat_store_dword v[16:17], v2
	s_waitcnt vmcnt(0)
	flat_store_dword v[18:19], v3
	s_waitcnt vmcnt(0) lgkmcnt(0)
	s_barrier
	ds_read_b32 v0, v4 offset:12
	s_mov_b64 s[10:11], 0
	s_movk_i32 s14, 0xfff
	v_mov_b32_e32 v1, v44
	s_branch .LBB6_209
.LBB6_208:                              ;   in Loop: Header=BB6_209 Depth=1
	s_or_b64 exec, exec, s[8:9]
	v_add_u32_e32 v1, s43, v1
	v_cmp_lt_u32_e32 vcc, s14, v1
	s_or_b64 s[10:11], vcc, s[10:11]
	v_add_u32_e32 v33, s46, v33
	s_andn2_b64 exec, exec, s[10:11]
	s_cbranch_execz .LBB6_213
.LBB6_209:                              ; =>This Inner Loop Header: Depth=1
	v_cmp_ne_u32_e32 vcc, 0, v1
	v_mov_b32_e32 v2, 0
	s_and_saveexec_b64 s[8:9], vcc
	s_cbranch_execz .LBB6_211
; %bb.210:                              ;   in Loop: Header=BB6_209 Depth=1
	ds_read_b32 v2, v33
.LBB6_211:                              ;   in Loop: Header=BB6_209 Depth=1
	s_or_b64 exec, exec, s[8:9]
	ds_read_b32 v3, v33 offset:4
	s_waitcnt lgkmcnt(1)
	v_cmp_lt_i32_e32 vcc, v2, v26
	s_waitcnt lgkmcnt(0)
	v_cmp_ge_i32_e64 s[8:9], v3, v26
	s_and_b64 s[16:17], vcc, s[8:9]
	s_and_saveexec_b64 s[8:9], s[16:17]
	s_cbranch_execz .LBB6_208
; %bb.212:                              ;   in Loop: Header=BB6_209 Depth=1
	v_sub_u32_e32 v3, v3, v2
	v_sub_u32_e32 v2, v26, v2
	v_or_b32_e32 v0, v0, v1
	ds_write_b64 v4, v[2:3]
	ds_write_b32 v4, v0 offset:12
	s_branch .LBB6_208
.LBB6_213:
	s_or_b64 exec, exec, s[10:11]
	s_and_saveexec_b64 s[8:9], s[6:7]
	s_cbranch_execz .LBB6_215
; %bb.214:
	v_mov_b32_e32 v0, 0
	ds_read_b32 v1, v0 offset:4
	s_waitcnt lgkmcnt(0)
	ds_write_b32 v0, v1 offset:8
.LBB6_215:
	s_or_b64 exec, exec, s[8:9]
	s_mov_b32 s20, 2
	s_waitcnt lgkmcnt(0)
	s_barrier
.LBB6_216:
	s_lshl_b64 s[34:35], s[24:25], 2
	s_add_u32 s6, s36, s34
	s_addc_u32 s7, s37, s35
	s_add_u32 s36, s38, s34
	s_addc_u32 s37, s39, s35
	s_add_u32 s8, s22, s26
	s_addc_u32 s9, s23, s27
	s_cmp_lg_u64 s[22:23], 0
	s_cselect_b32 s10, s8, 0
	s_cselect_b32 s11, s9, 0
	s_add_u32 s8, s4, 0x58
	s_addc_u32 s9, s5, 0
	v_mov_b32_e32 v31, v44
	v_mov_b32_e32 v0, s45
	;; [unrolled: 1-line block ×12, first 2 shown]
	s_getpc_b64 s[4:5]
	s_add_u32 s4, s4, _ZN5aiter2ob11last_filterIfiLi12ELb1ELb0EEEvPKT_PKT0_PS2_PS5_S5_S5_PNS0_7CounterIS2_S5_EEbib@rel32@lo+4
	s_addc_u32 s5, s5, _ZN5aiter2ob11last_filterIfiLi12ELb1ELb0EEEvPKT_PKT0_PS2_PS5_S5_S5_PNS0_7CounterIS2_S5_EEbib@rel32@hi+12
	s_swappc_b64 s[30:31], s[4:5]
	s_cmp_eq_u32 s33, 0
	s_cbranch_scc1 .LBB6_227
; %bb.217:
	v_cmp_gt_i32_e32 vcc, s42, v44
	s_barrier
	s_and_saveexec_b64 s[4:5], vcc
	s_cbranch_execz .LBB6_227
; %bb.218:
	v_xad_u32 v0, v44, -1, s42
	s_movk_i32 s4, 0x3ff
	v_cmp_lt_u32_e32 vcc, s4, v0
	s_mov_b64 s[6:7], -1
	s_and_saveexec_b64 s[4:5], vcc
	s_cbranch_execz .LBB6_224
; %bb.219:
	v_lshrrev_b32_e32 v0, 10, v0
	v_add_u32_e32 v5, 1, v0
	v_and_b32_e32 v4, 0x7ffffe, v5
	v_or_b32_e32 v45, 0x400, v44
	s_mov_b32 s8, s33
	s_mov_b64 s[6:7], 0
	v_mov_b32_e32 v6, s37
	v_mov_b32_e32 v1, 0
	;; [unrolled: 1-line block ×3, first 2 shown]
	v_pk_mov_b32 v[2:3], v[44:45], v[44:45] op_sel:[0,1]
.LBB6_220:                              ; =>This Inner Loop Header: Depth=1
	v_mov_b32_e32 v0, v2
	v_lshlrev_b64 v[8:9], 2, v[0:1]
	v_mov_b32_e32 v0, v3
	v_add_co_u32_e32 v8, vcc, s36, v8
	v_addc_co_u32_e32 v9, vcc, v6, v9, vcc
	v_lshlrev_b64 v[10:11], 2, v[0:1]
	v_add_co_u32_e32 v10, vcc, s36, v10
	v_addc_co_u32_e32 v11, vcc, v6, v11, vcc
	global_load_dword v0, v[8:9], off
	global_load_dword v12, v[10:11], off
	v_add_u32_e32 v7, -2, v7
	v_cmp_eq_u32_e32 vcc, 0, v7
	v_add_u32_e32 v2, 0x800, v2
	v_add_u32_e32 v3, 0x800, v3
	s_or_b64 s[6:7], vcc, s[6:7]
	s_waitcnt vmcnt(1)
	v_add_u32_e32 v0, s33, v0
	s_waitcnt vmcnt(0)
	v_add_u32_e32 v12, s8, v12
	global_store_dword v[8:9], v0, off
	global_store_dword v[10:11], v12, off
	s_andn2_b64 exec, exec, s[6:7]
	s_cbranch_execnz .LBB6_220
; %bb.221:
	s_or_b64 exec, exec, s[6:7]
	v_cmp_ne_u32_e32 vcc, v5, v4
	s_mov_b64 s[6:7], 0
	s_and_saveexec_b64 s[8:9], vcc
; %bb.222:
	s_mov_b64 s[6:7], exec
	v_lshl_or_b32 v44, v4, 10, v44
	v_mov_b32_e32 v45, 0
; %bb.223:
	s_or_b64 exec, exec, s[8:9]
	s_orn2_b64 s[6:7], s[6:7], exec
.LBB6_224:
	s_or_b64 exec, exec, s[4:5]
	s_and_b64 exec, exec, s[6:7]
	s_cbranch_execz .LBB6_227
; %bb.225:
	s_add_u32 s4, s38, s34
	v_lshlrev_b64 v[0:1], 2, v[44:45]
	s_addc_u32 s5, s39, s35
	v_mov_b32_e32 v2, s5
	v_add_co_u32_e32 v0, vcc, s4, v0
	v_addc_co_u32_e32 v1, vcc, v2, v1, vcc
	s_mov_b64 s[4:5], 0
.LBB6_226:                              ; =>This Inner Loop Header: Depth=1
	global_load_dword v2, v[0:1], off
	v_add_u32_e32 v44, 0x400, v44
	v_cmp_le_i32_e32 vcc, s42, v44
	s_or_b64 s[4:5], vcc, s[4:5]
	s_waitcnt vmcnt(0)
	v_add_u32_e32 v2, s33, v2
	global_store_dword v[0:1], v2, off
	v_add_co_u32_e32 v0, vcc, 0x1000, v0
	v_addc_co_u32_e32 v1, vcc, 0, v1, vcc
	s_andn2_b64 exec, exec, s[4:5]
	s_cbranch_execnz .LBB6_226
.LBB6_227:
	s_endpgm
	.section	.rodata,"a",@progbits
	.p2align	6, 0x0
	.amdhsa_kernel _ZN5aiter2ob27radix_topk_one_block_kernelIfiLi12ELi1024ELb1ELb0ELNS0_5PhaseE0EEEvPKT_PKT0_lS8_S8_S6_PS3_PS6_bPci
		.amdhsa_group_segment_fixed_size 33920
		.amdhsa_private_segment_fixed_size 0
		.amdhsa_kernarg_size 344
		.amdhsa_user_sgpr_count 8
		.amdhsa_user_sgpr_private_segment_buffer 1
		.amdhsa_user_sgpr_dispatch_ptr 0
		.amdhsa_user_sgpr_queue_ptr 0
		.amdhsa_user_sgpr_kernarg_segment_ptr 1
		.amdhsa_user_sgpr_dispatch_id 0
		.amdhsa_user_sgpr_flat_scratch_init 1
		.amdhsa_user_sgpr_kernarg_preload_length 0
		.amdhsa_user_sgpr_kernarg_preload_offset 0
		.amdhsa_user_sgpr_private_segment_size 0
		.amdhsa_uses_dynamic_stack 0
		.amdhsa_system_sgpr_private_segment_wavefront_offset 0
		.amdhsa_system_sgpr_workgroup_id_x 1
		.amdhsa_system_sgpr_workgroup_id_y 0
		.amdhsa_system_sgpr_workgroup_id_z 0
		.amdhsa_system_sgpr_workgroup_info 0
		.amdhsa_system_vgpr_workitem_id 0
		.amdhsa_next_free_vgpr 64
		.amdhsa_next_free_sgpr 56
		.amdhsa_accum_offset 56
		.amdhsa_reserve_vcc 1
		.amdhsa_reserve_flat_scratch 1
		.amdhsa_float_round_mode_32 0
		.amdhsa_float_round_mode_16_64 0
		.amdhsa_float_denorm_mode_32 3
		.amdhsa_float_denorm_mode_16_64 3
		.amdhsa_dx10_clamp 1
		.amdhsa_ieee_mode 1
		.amdhsa_fp16_overflow 0
		.amdhsa_tg_split 0
		.amdhsa_exception_fp_ieee_invalid_op 0
		.amdhsa_exception_fp_denorm_src 0
		.amdhsa_exception_fp_ieee_div_zero 0
		.amdhsa_exception_fp_ieee_overflow 0
		.amdhsa_exception_fp_ieee_underflow 0
		.amdhsa_exception_fp_ieee_inexact 0
		.amdhsa_exception_int_div_zero 0
	.end_amdhsa_kernel
	.section	.text._ZN5aiter2ob27radix_topk_one_block_kernelIfiLi12ELi1024ELb1ELb0ELNS0_5PhaseE0EEEvPKT_PKT0_lS8_S8_S6_PS3_PS6_bPci,"axG",@progbits,_ZN5aiter2ob27radix_topk_one_block_kernelIfiLi12ELi1024ELb1ELb0ELNS0_5PhaseE0EEEvPKT_PKT0_lS8_S8_S6_PS3_PS6_bPci,comdat
.Lfunc_end6:
	.size	_ZN5aiter2ob27radix_topk_one_block_kernelIfiLi12ELi1024ELb1ELb0ELNS0_5PhaseE0EEEvPKT_PKT0_lS8_S8_S6_PS3_PS6_bPci, .Lfunc_end6-_ZN5aiter2ob27radix_topk_one_block_kernelIfiLi12ELi1024ELb1ELb0ELNS0_5PhaseE0EEEvPKT_PKT0_lS8_S8_S6_PS3_PS6_bPci
                                        ; -- End function
	.section	.AMDGPU.csdata,"",@progbits
; Kernel info:
; codeLenInByte = 10536
; NumSgprs: 62
; NumVgprs: 56
; NumAgprs: 8
; TotalNumVgprs: 64
; ScratchSize: 0
; MemoryBound: 0
; FloatMode: 240
; IeeeMode: 1
; LDSByteSize: 33920 bytes/workgroup (compile time only)
; SGPRBlocks: 7
; VGPRBlocks: 7
; NumSGPRsForWavesPerEU: 62
; NumVGPRsForWavesPerEU: 64
; AccumOffset: 56
; Occupancy: 4
; WaveLimiterHint : 0
; COMPUTE_PGM_RSRC2:SCRATCH_EN: 0
; COMPUTE_PGM_RSRC2:USER_SGPR: 8
; COMPUTE_PGM_RSRC2:TRAP_HANDLER: 0
; COMPUTE_PGM_RSRC2:TGID_X_EN: 1
; COMPUTE_PGM_RSRC2:TGID_Y_EN: 0
; COMPUTE_PGM_RSRC2:TGID_Z_EN: 0
; COMPUTE_PGM_RSRC2:TIDIG_COMP_CNT: 0
; COMPUTE_PGM_RSRC3_GFX90A:ACCUM_OFFSET: 13
; COMPUTE_PGM_RSRC3_GFX90A:TG_SPLIT: 0
	.text
	.p2align	2                               ; -- Begin function _ZN5aiter2ob11last_filterIfiLi11ELb1ELb0EEEvPKT_PKT0_PS2_PS5_S5_S5_PNS0_7CounterIS2_S5_EEbib
	.type	_ZN5aiter2ob11last_filterIfiLi11ELb1ELb0EEEvPKT_PKT0_PS2_PS5_S5_S5_PNS0_7CounterIS2_S5_EEbib,@function
_ZN5aiter2ob11last_filterIfiLi11ELb1ELb0EEEvPKT_PKT0_PS2_PS5_S5_S5_PNS0_7CounterIS2_S5_EEbib: ; @_ZN5aiter2ob11last_filterIfiLi11ELb1ELb0EEEvPKT_PKT0_PS2_PS5_S5_S5_PNS0_7CounterIS2_S5_EEbib
; %bb.0:
	s_waitcnt vmcnt(0) expcnt(0) lgkmcnt(0)
	v_accvgpr_write_b32 a0, v40             ;  Reload Reuse
	v_accvgpr_write_b32 a1, v41             ;  Reload Reuse
	;; [unrolled: 1-line block ×8, first 2 shown]
	v_mov_b32_e32 v12, 0
	ds_read2_b32 v[22:23], v12 offset1:3
	v_mad_u64_u32 v[10:11], s[4:5], v10, -11, 21
	v_max_i32_e32 v11, 0, v10
	v_cmp_ne_u64_e32 vcc, 0, v[2:3]
	s_and_saveexec_b64 s[4:5], vcc
	s_xor_b64 s[4:5], exec, s[4:5]
	s_cbranch_execz .LBB7_135
; %bb.1:
	s_load_dword s6, s[8:9], 0x0
	v_and_b32_e32 v10, 0x3ff, v31
	s_waitcnt lgkmcnt(0)
	s_cmp_lt_u32 s12, s6
	s_cselect_b32 s6, 12, 18
	s_add_u32 s6, s8, s6
	s_addc_u32 s7, s9, 0
	global_load_ushort v12, v12, s[6:7]
	s_waitcnt vmcnt(0)
	v_mul_lo_u32 v20, v12, 7
	v_readfirstlane_b32 s13, v12
	v_add_u32_e32 v12, v10, v20
	v_cmp_lt_i32_e32 vcc, v12, v8
	s_and_saveexec_b64 s[6:7], vcc
	s_cbranch_execz .LBB7_117
; %bb.2:
	v_lshlrev_b32_e32 v14, 2, v10
	v_add_co_u32_e32 v12, vcc, v0, v14
	v_addc_co_u32_e32 v13, vcc, 0, v1, vcc
	s_mov_b32 s14, 0
	v_add_co_u32_e32 v14, vcc, v2, v14
	s_lshl_b32 s22, s13, 3
	v_lshlrev_b32_e64 v21, v11, -1
	s_lshl_b32 s23, s13, 1
	s_mul_i32 s24, s13, 3
	s_lshl_b32 s25, s13, 2
	s_mul_i32 s26, s13, 5
	s_mul_i32 s27, s13, 6
	s_lshl_b32 s28, s13, 5
	s_mov_b32 s29, s14
	v_addc_co_u32_e32 v15, vcc, 0, v3, vcc
	s_mov_b64 s[10:11], 0
	v_mov_b32_e32 v24, s14
	v_bfrev_b32_e32 v25, -2
	v_mov_b32_e32 v17, 0
	s_branch .LBB7_4
.LBB7_3:                                ;   in Loop: Header=BB7_4 Depth=1
	s_or_b64 exec, exec, s[14:15]
	v_add_u32_e32 v10, s22, v10
	v_mov_b32_e32 v18, s29
	v_add_co_u32_e32 v12, vcc, s28, v12
	v_add_u32_e32 v16, v20, v10
	v_addc_co_u32_e32 v13, vcc, v13, v18, vcc
	v_cmp_ge_i32_e32 vcc, v16, v8
	s_or_b64 s[10:11], vcc, s[10:11]
	v_add_co_u32_e32 v14, vcc, s28, v14
	v_addc_co_u32_e32 v15, vcc, v15, v18, vcc
	s_andn2_b64 exec, exec, s[10:11]
	s_cbranch_execz .LBB7_116
.LBB7_4:                                ; =>This Inner Loop Header: Depth=1
	v_add_co_u32_e32 v26, vcc, s25, v12
	v_add_u32_e32 v16, s23, v10
	v_addc_co_u32_e32 v27, vcc, v13, v24, vcc
	v_lshlrev_b64 v[50:51], 2, v[16:17]
	flat_load_dword v39, v[12:13]
	flat_load_dword v37, v[26:27]
	v_add_co_u32_e32 v26, vcc, v0, v50
	v_add_u32_e32 v16, s24, v10
	v_addc_co_u32_e32 v27, vcc, v1, v51, vcc
	v_lshlrev_b64 v[52:53], 2, v[16:17]
	v_add_co_u32_e32 v28, vcc, v0, v52
	v_add_u32_e32 v16, s25, v10
	v_addc_co_u32_e32 v29, vcc, v1, v53, vcc
	v_lshlrev_b64 v[54:55], 2, v[16:17]
	;; [unrolled: 4-line block ×4, first 2 shown]
	v_add_u32_e32 v18, v20, v10
	v_add_co_u32_e32 v44, vcc, v0, v42
	v_mov_b32_e32 v19, v17
	v_addc_co_u32_e32 v45, vcc, v1, v43, vcc
	v_lshlrev_b64 v[18:19], 2, v[18:19]
	v_add_co_u32_e32 v46, vcc, v0, v18
	v_addc_co_u32_e32 v47, vcc, v1, v19, vcc
	flat_load_dword v35, v[26:27]
	flat_load_dword v33, v[28:29]
	s_nop 0
	flat_load_dword v31, v[30:31]
	s_nop 0
	flat_load_dword v29, v[48:49]
	flat_load_dword v27, v[44:45]
	;; [unrolled: 1-line block ×3, first 2 shown]
	s_nop 0
	flat_load_dword v48, v[14:15]
	v_add_co_u32_e32 v44, vcc, s25, v14
	v_addc_co_u32_e32 v45, vcc, v15, v24, vcc
	v_add_co_u32_e32 v50, vcc, v2, v50
	v_addc_co_u32_e32 v51, vcc, v3, v51, vcc
	;; [unrolled: 2-line block ×6, first 2 shown]
	v_add_co_u32_e32 v18, vcc, v2, v18
	flat_load_dword v38, v[44:45]
	v_addc_co_u32_e32 v19, vcc, v3, v19, vcc
	flat_load_dword v36, v[50:51]
	flat_load_dword v34, v[52:53]
	;; [unrolled: 1-line block ×6, first 2 shown]
	s_mov_b64 s[16:17], 0
	s_waitcnt vmcnt(0) lgkmcnt(0)
	v_cmp_gt_i32_e32 vcc, 0, v39
	v_cndmask_b32_e64 v18, v25, 0, vcc
	v_xor_b32_e32 v18, v18, v39
	v_and_b32_e32 v19, v18, v21
	v_cmp_ge_u32_e32 vcc, v19, v23
                                        ; implicit-def: $vgpr18
	s_and_saveexec_b64 s[14:15], vcc
	s_xor_b64 s[14:15], exec, s[14:15]
	s_cbranch_execnz .LBB7_35
; %bb.5:                                ;   in Loop: Header=BB7_4 Depth=1
	s_andn2_saveexec_b64 s[14:15], s[14:15]
	s_cbranch_execnz .LBB7_42
.LBB7_6:                                ;   in Loop: Header=BB7_4 Depth=1
	s_or_b64 exec, exec, s[14:15]
	s_and_saveexec_b64 s[14:15], s[16:17]
	s_cbranch_execz .LBB7_8
.LBB7_7:                                ;   in Loop: Header=BB7_4 Depth=1
	v_ashrrev_i32_e32 v19, 31, v18
	v_lshlrev_b64 v[18:19], 2, v[18:19]
	v_add_co_u32_e32 v50, vcc, v4, v18
	v_addc_co_u32_e32 v51, vcc, v5, v19, vcc
	v_add_co_u32_e32 v18, vcc, v6, v18
	v_addc_co_u32_e32 v19, vcc, v7, v19, vcc
	flat_store_dword v[50:51], v39
	flat_store_dword v[18:19], v48
.LBB7_8:                                ;   in Loop: Header=BB7_4 Depth=1
	s_or_b64 exec, exec, s[14:15]
	v_cmp_gt_i32_e32 vcc, 0, v37
	v_cndmask_b32_e64 v18, v25, 0, vcc
	v_xor_b32_e32 v18, v18, v37
	v_and_b32_e32 v19, v18, v21
	v_cmp_ge_u32_e32 vcc, v19, v23
	s_mov_b64 s[16:17], 0
                                        ; implicit-def: $vgpr18
	s_and_saveexec_b64 s[14:15], vcc
	s_xor_b64 s[14:15], exec, s[14:15]
	s_cbranch_execnz .LBB7_45
; %bb.9:                                ;   in Loop: Header=BB7_4 Depth=1
	s_andn2_saveexec_b64 s[14:15], s[14:15]
	s_cbranch_execnz .LBB7_52
.LBB7_10:                               ;   in Loop: Header=BB7_4 Depth=1
	s_or_b64 exec, exec, s[14:15]
	s_and_saveexec_b64 s[14:15], s[16:17]
	s_cbranch_execz .LBB7_12
.LBB7_11:                               ;   in Loop: Header=BB7_4 Depth=1
	v_ashrrev_i32_e32 v19, 31, v18
	v_lshlrev_b64 v[18:19], 2, v[18:19]
	v_add_co_u32_e32 v48, vcc, v4, v18
	v_addc_co_u32_e32 v49, vcc, v5, v19, vcc
	v_add_co_u32_e32 v18, vcc, v6, v18
	v_addc_co_u32_e32 v19, vcc, v7, v19, vcc
	flat_store_dword v[48:49], v37
	flat_store_dword v[18:19], v38
.LBB7_12:                               ;   in Loop: Header=BB7_4 Depth=1
	s_or_b64 exec, exec, s[14:15]
	v_cmp_gt_i32_e32 vcc, 0, v35
	v_cndmask_b32_e64 v18, v25, 0, vcc
	v_xor_b32_e32 v18, v18, v35
	v_and_b32_e32 v19, v18, v21
	v_cmp_ge_u32_e32 vcc, v19, v23
	s_mov_b64 s[16:17], 0
                                        ; implicit-def: $vgpr18
	s_and_saveexec_b64 s[14:15], vcc
	s_xor_b64 s[14:15], exec, s[14:15]
	s_cbranch_execnz .LBB7_55
; %bb.13:                               ;   in Loop: Header=BB7_4 Depth=1
	s_andn2_saveexec_b64 s[14:15], s[14:15]
	s_cbranch_execnz .LBB7_62
.LBB7_14:                               ;   in Loop: Header=BB7_4 Depth=1
	s_or_b64 exec, exec, s[14:15]
	s_and_saveexec_b64 s[14:15], s[16:17]
	s_cbranch_execz .LBB7_16
.LBB7_15:                               ;   in Loop: Header=BB7_4 Depth=1
	v_ashrrev_i32_e32 v19, 31, v18
	v_lshlrev_b64 v[18:19], 2, v[18:19]
	v_add_co_u32_e32 v38, vcc, v4, v18
	v_addc_co_u32_e32 v39, vcc, v5, v19, vcc
	v_add_co_u32_e32 v18, vcc, v6, v18
	v_addc_co_u32_e32 v19, vcc, v7, v19, vcc
	flat_store_dword v[38:39], v35
	flat_store_dword v[18:19], v36
.LBB7_16:                               ;   in Loop: Header=BB7_4 Depth=1
	s_or_b64 exec, exec, s[14:15]
	v_cmp_gt_i32_e32 vcc, 0, v33
	v_cndmask_b32_e64 v18, v25, 0, vcc
	v_xor_b32_e32 v18, v18, v33
	v_and_b32_e32 v19, v18, v21
	v_cmp_ge_u32_e32 vcc, v19, v23
	s_mov_b64 s[16:17], 0
                                        ; implicit-def: $vgpr18
	s_and_saveexec_b64 s[14:15], vcc
	s_xor_b64 s[14:15], exec, s[14:15]
	s_cbranch_execnz .LBB7_65
; %bb.17:                               ;   in Loop: Header=BB7_4 Depth=1
	s_andn2_saveexec_b64 s[14:15], s[14:15]
	s_cbranch_execnz .LBB7_72
.LBB7_18:                               ;   in Loop: Header=BB7_4 Depth=1
	s_or_b64 exec, exec, s[14:15]
	s_and_saveexec_b64 s[14:15], s[16:17]
	s_cbranch_execz .LBB7_20
.LBB7_19:                               ;   in Loop: Header=BB7_4 Depth=1
	v_ashrrev_i32_e32 v19, 31, v18
	v_lshlrev_b64 v[18:19], 2, v[18:19]
	v_add_co_u32_e32 v36, vcc, v4, v18
	v_addc_co_u32_e32 v37, vcc, v5, v19, vcc
	v_add_co_u32_e32 v18, vcc, v6, v18
	v_addc_co_u32_e32 v19, vcc, v7, v19, vcc
	flat_store_dword v[36:37], v33
	flat_store_dword v[18:19], v34
.LBB7_20:                               ;   in Loop: Header=BB7_4 Depth=1
	s_or_b64 exec, exec, s[14:15]
	v_cmp_gt_i32_e32 vcc, 0, v31
	v_cndmask_b32_e64 v18, v25, 0, vcc
	v_xor_b32_e32 v18, v18, v31
	v_and_b32_e32 v19, v18, v21
	v_cmp_ge_u32_e32 vcc, v19, v23
	s_mov_b64 s[16:17], 0
                                        ; implicit-def: $vgpr18
	s_and_saveexec_b64 s[14:15], vcc
	s_xor_b64 s[14:15], exec, s[14:15]
	s_cbranch_execnz .LBB7_75
; %bb.21:                               ;   in Loop: Header=BB7_4 Depth=1
	s_andn2_saveexec_b64 s[14:15], s[14:15]
	s_cbranch_execnz .LBB7_82
.LBB7_22:                               ;   in Loop: Header=BB7_4 Depth=1
	s_or_b64 exec, exec, s[14:15]
	s_and_saveexec_b64 s[14:15], s[16:17]
	s_cbranch_execz .LBB7_24
.LBB7_23:                               ;   in Loop: Header=BB7_4 Depth=1
	v_ashrrev_i32_e32 v19, 31, v18
	v_lshlrev_b64 v[18:19], 2, v[18:19]
	v_add_co_u32_e32 v34, vcc, v4, v18
	v_addc_co_u32_e32 v35, vcc, v5, v19, vcc
	v_add_co_u32_e32 v18, vcc, v6, v18
	v_addc_co_u32_e32 v19, vcc, v7, v19, vcc
	flat_store_dword v[34:35], v31
	flat_store_dword v[18:19], v32
.LBB7_24:                               ;   in Loop: Header=BB7_4 Depth=1
	s_or_b64 exec, exec, s[14:15]
	v_cmp_gt_i32_e32 vcc, 0, v29
	v_cndmask_b32_e64 v18, v25, 0, vcc
	v_xor_b32_e32 v18, v18, v29
	v_and_b32_e32 v19, v18, v21
	v_cmp_ge_u32_e32 vcc, v19, v23
	s_mov_b64 s[16:17], 0
                                        ; implicit-def: $vgpr18
	s_and_saveexec_b64 s[14:15], vcc
	s_xor_b64 s[14:15], exec, s[14:15]
	s_cbranch_execnz .LBB7_85
; %bb.25:                               ;   in Loop: Header=BB7_4 Depth=1
	s_andn2_saveexec_b64 s[14:15], s[14:15]
	s_cbranch_execnz .LBB7_92
.LBB7_26:                               ;   in Loop: Header=BB7_4 Depth=1
	s_or_b64 exec, exec, s[14:15]
	s_and_saveexec_b64 s[14:15], s[16:17]
	s_cbranch_execz .LBB7_28
.LBB7_27:                               ;   in Loop: Header=BB7_4 Depth=1
	v_ashrrev_i32_e32 v19, 31, v18
	v_lshlrev_b64 v[18:19], 2, v[18:19]
	v_add_co_u32_e32 v32, vcc, v4, v18
	v_addc_co_u32_e32 v33, vcc, v5, v19, vcc
	v_add_co_u32_e32 v18, vcc, v6, v18
	v_addc_co_u32_e32 v19, vcc, v7, v19, vcc
	flat_store_dword v[32:33], v29
	flat_store_dword v[18:19], v30
.LBB7_28:                               ;   in Loop: Header=BB7_4 Depth=1
	s_or_b64 exec, exec, s[14:15]
	v_cmp_gt_i32_e32 vcc, 0, v27
	v_cndmask_b32_e64 v18, v25, 0, vcc
	v_xor_b32_e32 v18, v18, v27
	v_and_b32_e32 v19, v18, v21
	v_cmp_ge_u32_e32 vcc, v19, v23
	s_mov_b64 s[16:17], 0
                                        ; implicit-def: $vgpr18
	s_and_saveexec_b64 s[14:15], vcc
	s_xor_b64 s[14:15], exec, s[14:15]
	s_cbranch_execnz .LBB7_95
; %bb.29:                               ;   in Loop: Header=BB7_4 Depth=1
	s_andn2_saveexec_b64 s[14:15], s[14:15]
	s_cbranch_execnz .LBB7_102
.LBB7_30:                               ;   in Loop: Header=BB7_4 Depth=1
	s_or_b64 exec, exec, s[14:15]
	s_and_saveexec_b64 s[14:15], s[16:17]
	s_cbranch_execz .LBB7_32
.LBB7_31:                               ;   in Loop: Header=BB7_4 Depth=1
	v_ashrrev_i32_e32 v19, 31, v18
	v_lshlrev_b64 v[18:19], 2, v[18:19]
	v_add_co_u32_e32 v30, vcc, v4, v18
	v_addc_co_u32_e32 v31, vcc, v5, v19, vcc
	v_add_co_u32_e32 v18, vcc, v6, v18
	v_addc_co_u32_e32 v19, vcc, v7, v19, vcc
	flat_store_dword v[30:31], v27
	flat_store_dword v[18:19], v28
.LBB7_32:                               ;   in Loop: Header=BB7_4 Depth=1
	s_or_b64 exec, exec, s[14:15]
	v_cmp_gt_i32_e32 vcc, 0, v16
	v_cndmask_b32_e64 v18, v25, 0, vcc
	v_xor_b32_e32 v18, v18, v16
	v_and_b32_e32 v19, v18, v21
	v_cmp_ge_u32_e32 vcc, v19, v23
	s_mov_b64 s[16:17], 0
                                        ; implicit-def: $vgpr18
	s_and_saveexec_b64 s[14:15], vcc
	s_xor_b64 s[14:15], exec, s[14:15]
	s_cbranch_execnz .LBB7_105
; %bb.33:                               ;   in Loop: Header=BB7_4 Depth=1
	s_andn2_saveexec_b64 s[14:15], s[14:15]
	s_cbranch_execnz .LBB7_112
.LBB7_34:                               ;   in Loop: Header=BB7_4 Depth=1
	s_or_b64 exec, exec, s[14:15]
	s_and_saveexec_b64 s[14:15], s[16:17]
	s_cbranch_execz .LBB7_3
	s_branch .LBB7_115
.LBB7_35:                               ;   in Loop: Header=BB7_4 Depth=1
	v_cmp_eq_u32_e32 vcc, v19, v23
	s_mov_b64 s[18:19], 0
                                        ; implicit-def: $vgpr18
	s_and_saveexec_b64 s[16:17], vcc
	s_cbranch_execz .LBB7_41
; %bb.36:                               ;   in Loop: Header=BB7_4 Depth=1
	s_mov_b64 s[20:21], exec
	v_mbcnt_lo_u32_b32 v18, s20, 0
	v_mbcnt_hi_u32_b32 v18, s21, v18
	v_cmp_eq_u32_e32 vcc, 0, v18
                                        ; implicit-def: $vgpr19
	s_and_saveexec_b64 s[18:19], vcc
	s_cbranch_execz .LBB7_38
; %bb.37:                               ;   in Loop: Header=BB7_4 Depth=1
	s_bcnt1_i32_b64 s20, s[20:21]
	v_mov_b32_e32 v19, s20
	ds_add_rtn_u32 v19, v17, v19 offset:512
.LBB7_38:                               ;   in Loop: Header=BB7_4 Depth=1
	s_or_b64 exec, exec, s[18:19]
	s_waitcnt lgkmcnt(0)
	v_readfirstlane_b32 s18, v19
	v_add_u32_e32 v19, s18, v18
	v_cmp_lt_i32_e32 vcc, v19, v22
	s_mov_b64 s[18:19], 0
                                        ; implicit-def: $vgpr18
	s_and_saveexec_b64 s[20:21], vcc
	s_xor_b64 s[20:21], exec, s[20:21]
; %bb.39:                               ;   in Loop: Header=BB7_4 Depth=1
	s_mov_b64 s[18:19], exec
	v_xad_u32 v18, v19, -1, v9
; %bb.40:                               ;   in Loop: Header=BB7_4 Depth=1
	s_or_b64 exec, exec, s[20:21]
	s_and_b64 s[18:19], s[18:19], exec
.LBB7_41:                               ;   in Loop: Header=BB7_4 Depth=1
	s_or_b64 exec, exec, s[16:17]
	s_and_b64 s[16:17], s[18:19], exec
	s_andn2_saveexec_b64 s[14:15], s[14:15]
	s_cbranch_execz .LBB7_6
.LBB7_42:                               ;   in Loop: Header=BB7_4 Depth=1
	s_mov_b64 s[20:21], exec
	v_mbcnt_lo_u32_b32 v18, s20, 0
	v_mbcnt_hi_u32_b32 v18, s21, v18
	v_cmp_eq_u32_e32 vcc, 0, v18
                                        ; implicit-def: $vgpr19
	s_and_saveexec_b64 s[18:19], vcc
	s_cbranch_execz .LBB7_44
; %bb.43:                               ;   in Loop: Header=BB7_4 Depth=1
	s_bcnt1_i32_b64 s20, s[20:21]
	v_mov_b32_e32 v19, s20
	ds_add_rtn_u32 v19, v17, v19 offset:384
.LBB7_44:                               ;   in Loop: Header=BB7_4 Depth=1
	s_or_b64 exec, exec, s[18:19]
	s_waitcnt lgkmcnt(0)
	v_readfirstlane_b32 s18, v19
	v_add_u32_e32 v18, s18, v18
	s_or_b64 s[16:17], s[16:17], exec
	s_or_b64 exec, exec, s[14:15]
	s_and_saveexec_b64 s[14:15], s[16:17]
	s_cbranch_execnz .LBB7_7
	s_branch .LBB7_8
.LBB7_45:                               ;   in Loop: Header=BB7_4 Depth=1
	v_cmp_eq_u32_e32 vcc, v19, v23
	s_mov_b64 s[18:19], 0
                                        ; implicit-def: $vgpr18
	s_and_saveexec_b64 s[16:17], vcc
	s_cbranch_execz .LBB7_51
; %bb.46:                               ;   in Loop: Header=BB7_4 Depth=1
	s_mov_b64 s[20:21], exec
	v_mbcnt_lo_u32_b32 v18, s20, 0
	v_mbcnt_hi_u32_b32 v18, s21, v18
	v_cmp_eq_u32_e32 vcc, 0, v18
                                        ; implicit-def: $vgpr19
	s_and_saveexec_b64 s[18:19], vcc
	s_cbranch_execz .LBB7_48
; %bb.47:                               ;   in Loop: Header=BB7_4 Depth=1
	s_bcnt1_i32_b64 s20, s[20:21]
	v_mov_b32_e32 v19, s20
	ds_add_rtn_u32 v19, v17, v19 offset:512
.LBB7_48:                               ;   in Loop: Header=BB7_4 Depth=1
	s_or_b64 exec, exec, s[18:19]
	s_waitcnt lgkmcnt(0)
	v_readfirstlane_b32 s18, v19
	v_add_u32_e32 v19, s18, v18
	v_cmp_lt_i32_e32 vcc, v19, v22
	s_mov_b64 s[18:19], 0
                                        ; implicit-def: $vgpr18
	s_and_saveexec_b64 s[20:21], vcc
	s_xor_b64 s[20:21], exec, s[20:21]
; %bb.49:                               ;   in Loop: Header=BB7_4 Depth=1
	s_mov_b64 s[18:19], exec
	v_xad_u32 v18, v19, -1, v9
; %bb.50:                               ;   in Loop: Header=BB7_4 Depth=1
	s_or_b64 exec, exec, s[20:21]
	s_and_b64 s[18:19], s[18:19], exec
.LBB7_51:                               ;   in Loop: Header=BB7_4 Depth=1
	s_or_b64 exec, exec, s[16:17]
	s_and_b64 s[16:17], s[18:19], exec
	s_andn2_saveexec_b64 s[14:15], s[14:15]
	s_cbranch_execz .LBB7_10
.LBB7_52:                               ;   in Loop: Header=BB7_4 Depth=1
	s_mov_b64 s[20:21], exec
	v_mbcnt_lo_u32_b32 v18, s20, 0
	v_mbcnt_hi_u32_b32 v18, s21, v18
	v_cmp_eq_u32_e32 vcc, 0, v18
                                        ; implicit-def: $vgpr19
	s_and_saveexec_b64 s[18:19], vcc
	s_cbranch_execz .LBB7_54
; %bb.53:                               ;   in Loop: Header=BB7_4 Depth=1
	s_bcnt1_i32_b64 s20, s[20:21]
	v_mov_b32_e32 v19, s20
	ds_add_rtn_u32 v19, v17, v19 offset:384
.LBB7_54:                               ;   in Loop: Header=BB7_4 Depth=1
	s_or_b64 exec, exec, s[18:19]
	s_waitcnt lgkmcnt(0)
	v_readfirstlane_b32 s18, v19
	v_add_u32_e32 v18, s18, v18
	s_or_b64 s[16:17], s[16:17], exec
	s_or_b64 exec, exec, s[14:15]
	s_and_saveexec_b64 s[14:15], s[16:17]
	s_cbranch_execnz .LBB7_11
	s_branch .LBB7_12
.LBB7_55:                               ;   in Loop: Header=BB7_4 Depth=1
	v_cmp_eq_u32_e32 vcc, v19, v23
	s_mov_b64 s[18:19], 0
                                        ; implicit-def: $vgpr18
	s_and_saveexec_b64 s[16:17], vcc
	s_cbranch_execz .LBB7_61
; %bb.56:                               ;   in Loop: Header=BB7_4 Depth=1
	s_mov_b64 s[20:21], exec
	v_mbcnt_lo_u32_b32 v18, s20, 0
	v_mbcnt_hi_u32_b32 v18, s21, v18
	v_cmp_eq_u32_e32 vcc, 0, v18
                                        ; implicit-def: $vgpr19
	s_and_saveexec_b64 s[18:19], vcc
	s_cbranch_execz .LBB7_58
; %bb.57:                               ;   in Loop: Header=BB7_4 Depth=1
	s_bcnt1_i32_b64 s20, s[20:21]
	v_mov_b32_e32 v19, s20
	ds_add_rtn_u32 v19, v17, v19 offset:512
.LBB7_58:                               ;   in Loop: Header=BB7_4 Depth=1
	s_or_b64 exec, exec, s[18:19]
	s_waitcnt lgkmcnt(0)
	v_readfirstlane_b32 s18, v19
	v_add_u32_e32 v19, s18, v18
	v_cmp_lt_i32_e32 vcc, v19, v22
	s_mov_b64 s[18:19], 0
                                        ; implicit-def: $vgpr18
	s_and_saveexec_b64 s[20:21], vcc
	s_xor_b64 s[20:21], exec, s[20:21]
; %bb.59:                               ;   in Loop: Header=BB7_4 Depth=1
	s_mov_b64 s[18:19], exec
	v_xad_u32 v18, v19, -1, v9
; %bb.60:                               ;   in Loop: Header=BB7_4 Depth=1
	s_or_b64 exec, exec, s[20:21]
	s_and_b64 s[18:19], s[18:19], exec
.LBB7_61:                               ;   in Loop: Header=BB7_4 Depth=1
	s_or_b64 exec, exec, s[16:17]
	s_and_b64 s[16:17], s[18:19], exec
	s_andn2_saveexec_b64 s[14:15], s[14:15]
	s_cbranch_execz .LBB7_14
.LBB7_62:                               ;   in Loop: Header=BB7_4 Depth=1
	s_mov_b64 s[20:21], exec
	v_mbcnt_lo_u32_b32 v18, s20, 0
	v_mbcnt_hi_u32_b32 v18, s21, v18
	v_cmp_eq_u32_e32 vcc, 0, v18
                                        ; implicit-def: $vgpr19
	s_and_saveexec_b64 s[18:19], vcc
	s_cbranch_execz .LBB7_64
; %bb.63:                               ;   in Loop: Header=BB7_4 Depth=1
	s_bcnt1_i32_b64 s20, s[20:21]
	v_mov_b32_e32 v19, s20
	ds_add_rtn_u32 v19, v17, v19 offset:384
.LBB7_64:                               ;   in Loop: Header=BB7_4 Depth=1
	s_or_b64 exec, exec, s[18:19]
	s_waitcnt lgkmcnt(0)
	v_readfirstlane_b32 s18, v19
	v_add_u32_e32 v18, s18, v18
	s_or_b64 s[16:17], s[16:17], exec
	s_or_b64 exec, exec, s[14:15]
	s_and_saveexec_b64 s[14:15], s[16:17]
	s_cbranch_execnz .LBB7_15
	s_branch .LBB7_16
.LBB7_65:                               ;   in Loop: Header=BB7_4 Depth=1
	v_cmp_eq_u32_e32 vcc, v19, v23
	s_mov_b64 s[18:19], 0
                                        ; implicit-def: $vgpr18
	s_and_saveexec_b64 s[16:17], vcc
	s_cbranch_execz .LBB7_71
; %bb.66:                               ;   in Loop: Header=BB7_4 Depth=1
	s_mov_b64 s[20:21], exec
	v_mbcnt_lo_u32_b32 v18, s20, 0
	v_mbcnt_hi_u32_b32 v18, s21, v18
	v_cmp_eq_u32_e32 vcc, 0, v18
                                        ; implicit-def: $vgpr19
	s_and_saveexec_b64 s[18:19], vcc
	s_cbranch_execz .LBB7_68
; %bb.67:                               ;   in Loop: Header=BB7_4 Depth=1
	s_bcnt1_i32_b64 s20, s[20:21]
	v_mov_b32_e32 v19, s20
	ds_add_rtn_u32 v19, v17, v19 offset:512
.LBB7_68:                               ;   in Loop: Header=BB7_4 Depth=1
	s_or_b64 exec, exec, s[18:19]
	s_waitcnt lgkmcnt(0)
	v_readfirstlane_b32 s18, v19
	v_add_u32_e32 v19, s18, v18
	v_cmp_lt_i32_e32 vcc, v19, v22
	s_mov_b64 s[18:19], 0
                                        ; implicit-def: $vgpr18
	s_and_saveexec_b64 s[20:21], vcc
	s_xor_b64 s[20:21], exec, s[20:21]
; %bb.69:                               ;   in Loop: Header=BB7_4 Depth=1
	s_mov_b64 s[18:19], exec
	v_xad_u32 v18, v19, -1, v9
; %bb.70:                               ;   in Loop: Header=BB7_4 Depth=1
	s_or_b64 exec, exec, s[20:21]
	s_and_b64 s[18:19], s[18:19], exec
.LBB7_71:                               ;   in Loop: Header=BB7_4 Depth=1
	s_or_b64 exec, exec, s[16:17]
	s_and_b64 s[16:17], s[18:19], exec
	s_andn2_saveexec_b64 s[14:15], s[14:15]
	s_cbranch_execz .LBB7_18
.LBB7_72:                               ;   in Loop: Header=BB7_4 Depth=1
	s_mov_b64 s[20:21], exec
	v_mbcnt_lo_u32_b32 v18, s20, 0
	v_mbcnt_hi_u32_b32 v18, s21, v18
	v_cmp_eq_u32_e32 vcc, 0, v18
                                        ; implicit-def: $vgpr19
	s_and_saveexec_b64 s[18:19], vcc
	s_cbranch_execz .LBB7_74
; %bb.73:                               ;   in Loop: Header=BB7_4 Depth=1
	s_bcnt1_i32_b64 s20, s[20:21]
	v_mov_b32_e32 v19, s20
	ds_add_rtn_u32 v19, v17, v19 offset:384
.LBB7_74:                               ;   in Loop: Header=BB7_4 Depth=1
	s_or_b64 exec, exec, s[18:19]
	s_waitcnt lgkmcnt(0)
	v_readfirstlane_b32 s18, v19
	v_add_u32_e32 v18, s18, v18
	s_or_b64 s[16:17], s[16:17], exec
	s_or_b64 exec, exec, s[14:15]
	s_and_saveexec_b64 s[14:15], s[16:17]
	s_cbranch_execnz .LBB7_19
	s_branch .LBB7_20
.LBB7_75:                               ;   in Loop: Header=BB7_4 Depth=1
	v_cmp_eq_u32_e32 vcc, v19, v23
	s_mov_b64 s[18:19], 0
                                        ; implicit-def: $vgpr18
	s_and_saveexec_b64 s[16:17], vcc
	s_cbranch_execz .LBB7_81
; %bb.76:                               ;   in Loop: Header=BB7_4 Depth=1
	s_mov_b64 s[20:21], exec
	v_mbcnt_lo_u32_b32 v18, s20, 0
	v_mbcnt_hi_u32_b32 v18, s21, v18
	v_cmp_eq_u32_e32 vcc, 0, v18
                                        ; implicit-def: $vgpr19
	s_and_saveexec_b64 s[18:19], vcc
	s_cbranch_execz .LBB7_78
; %bb.77:                               ;   in Loop: Header=BB7_4 Depth=1
	s_bcnt1_i32_b64 s20, s[20:21]
	v_mov_b32_e32 v19, s20
	ds_add_rtn_u32 v19, v17, v19 offset:512
.LBB7_78:                               ;   in Loop: Header=BB7_4 Depth=1
	s_or_b64 exec, exec, s[18:19]
	s_waitcnt lgkmcnt(0)
	v_readfirstlane_b32 s18, v19
	v_add_u32_e32 v19, s18, v18
	v_cmp_lt_i32_e32 vcc, v19, v22
	s_mov_b64 s[18:19], 0
                                        ; implicit-def: $vgpr18
	s_and_saveexec_b64 s[20:21], vcc
	s_xor_b64 s[20:21], exec, s[20:21]
; %bb.79:                               ;   in Loop: Header=BB7_4 Depth=1
	s_mov_b64 s[18:19], exec
	v_xad_u32 v18, v19, -1, v9
; %bb.80:                               ;   in Loop: Header=BB7_4 Depth=1
	s_or_b64 exec, exec, s[20:21]
	s_and_b64 s[18:19], s[18:19], exec
.LBB7_81:                               ;   in Loop: Header=BB7_4 Depth=1
	s_or_b64 exec, exec, s[16:17]
	s_and_b64 s[16:17], s[18:19], exec
	s_andn2_saveexec_b64 s[14:15], s[14:15]
	s_cbranch_execz .LBB7_22
.LBB7_82:                               ;   in Loop: Header=BB7_4 Depth=1
	s_mov_b64 s[20:21], exec
	v_mbcnt_lo_u32_b32 v18, s20, 0
	v_mbcnt_hi_u32_b32 v18, s21, v18
	v_cmp_eq_u32_e32 vcc, 0, v18
                                        ; implicit-def: $vgpr19
	s_and_saveexec_b64 s[18:19], vcc
	s_cbranch_execz .LBB7_84
; %bb.83:                               ;   in Loop: Header=BB7_4 Depth=1
	s_bcnt1_i32_b64 s20, s[20:21]
	v_mov_b32_e32 v19, s20
	ds_add_rtn_u32 v19, v17, v19 offset:384
.LBB7_84:                               ;   in Loop: Header=BB7_4 Depth=1
	s_or_b64 exec, exec, s[18:19]
	s_waitcnt lgkmcnt(0)
	v_readfirstlane_b32 s18, v19
	v_add_u32_e32 v18, s18, v18
	s_or_b64 s[16:17], s[16:17], exec
	s_or_b64 exec, exec, s[14:15]
	s_and_saveexec_b64 s[14:15], s[16:17]
	s_cbranch_execnz .LBB7_23
	s_branch .LBB7_24
.LBB7_85:                               ;   in Loop: Header=BB7_4 Depth=1
	v_cmp_eq_u32_e32 vcc, v19, v23
	s_mov_b64 s[18:19], 0
                                        ; implicit-def: $vgpr18
	s_and_saveexec_b64 s[16:17], vcc
	s_cbranch_execz .LBB7_91
; %bb.86:                               ;   in Loop: Header=BB7_4 Depth=1
	s_mov_b64 s[20:21], exec
	v_mbcnt_lo_u32_b32 v18, s20, 0
	v_mbcnt_hi_u32_b32 v18, s21, v18
	v_cmp_eq_u32_e32 vcc, 0, v18
                                        ; implicit-def: $vgpr19
	s_and_saveexec_b64 s[18:19], vcc
	s_cbranch_execz .LBB7_88
; %bb.87:                               ;   in Loop: Header=BB7_4 Depth=1
	s_bcnt1_i32_b64 s20, s[20:21]
	v_mov_b32_e32 v19, s20
	ds_add_rtn_u32 v19, v17, v19 offset:512
.LBB7_88:                               ;   in Loop: Header=BB7_4 Depth=1
	s_or_b64 exec, exec, s[18:19]
	s_waitcnt lgkmcnt(0)
	v_readfirstlane_b32 s18, v19
	v_add_u32_e32 v19, s18, v18
	v_cmp_lt_i32_e32 vcc, v19, v22
	s_mov_b64 s[18:19], 0
                                        ; implicit-def: $vgpr18
	s_and_saveexec_b64 s[20:21], vcc
	s_xor_b64 s[20:21], exec, s[20:21]
; %bb.89:                               ;   in Loop: Header=BB7_4 Depth=1
	s_mov_b64 s[18:19], exec
	v_xad_u32 v18, v19, -1, v9
; %bb.90:                               ;   in Loop: Header=BB7_4 Depth=1
	s_or_b64 exec, exec, s[20:21]
	s_and_b64 s[18:19], s[18:19], exec
.LBB7_91:                               ;   in Loop: Header=BB7_4 Depth=1
	s_or_b64 exec, exec, s[16:17]
	s_and_b64 s[16:17], s[18:19], exec
	s_andn2_saveexec_b64 s[14:15], s[14:15]
	s_cbranch_execz .LBB7_26
.LBB7_92:                               ;   in Loop: Header=BB7_4 Depth=1
	s_mov_b64 s[20:21], exec
	v_mbcnt_lo_u32_b32 v18, s20, 0
	v_mbcnt_hi_u32_b32 v18, s21, v18
	v_cmp_eq_u32_e32 vcc, 0, v18
                                        ; implicit-def: $vgpr19
	s_and_saveexec_b64 s[18:19], vcc
	s_cbranch_execz .LBB7_94
; %bb.93:                               ;   in Loop: Header=BB7_4 Depth=1
	s_bcnt1_i32_b64 s20, s[20:21]
	v_mov_b32_e32 v19, s20
	ds_add_rtn_u32 v19, v17, v19 offset:384
.LBB7_94:                               ;   in Loop: Header=BB7_4 Depth=1
	s_or_b64 exec, exec, s[18:19]
	s_waitcnt lgkmcnt(0)
	v_readfirstlane_b32 s18, v19
	v_add_u32_e32 v18, s18, v18
	s_or_b64 s[16:17], s[16:17], exec
	s_or_b64 exec, exec, s[14:15]
	s_and_saveexec_b64 s[14:15], s[16:17]
	s_cbranch_execnz .LBB7_27
	s_branch .LBB7_28
.LBB7_95:                               ;   in Loop: Header=BB7_4 Depth=1
	v_cmp_eq_u32_e32 vcc, v19, v23
	s_mov_b64 s[18:19], 0
                                        ; implicit-def: $vgpr18
	s_and_saveexec_b64 s[16:17], vcc
	s_cbranch_execz .LBB7_101
; %bb.96:                               ;   in Loop: Header=BB7_4 Depth=1
	s_mov_b64 s[20:21], exec
	v_mbcnt_lo_u32_b32 v18, s20, 0
	v_mbcnt_hi_u32_b32 v18, s21, v18
	v_cmp_eq_u32_e32 vcc, 0, v18
                                        ; implicit-def: $vgpr19
	s_and_saveexec_b64 s[18:19], vcc
	s_cbranch_execz .LBB7_98
; %bb.97:                               ;   in Loop: Header=BB7_4 Depth=1
	s_bcnt1_i32_b64 s20, s[20:21]
	v_mov_b32_e32 v19, s20
	ds_add_rtn_u32 v19, v17, v19 offset:512
.LBB7_98:                               ;   in Loop: Header=BB7_4 Depth=1
	s_or_b64 exec, exec, s[18:19]
	s_waitcnt lgkmcnt(0)
	v_readfirstlane_b32 s18, v19
	v_add_u32_e32 v19, s18, v18
	v_cmp_lt_i32_e32 vcc, v19, v22
	s_mov_b64 s[18:19], 0
                                        ; implicit-def: $vgpr18
	s_and_saveexec_b64 s[20:21], vcc
	s_xor_b64 s[20:21], exec, s[20:21]
; %bb.99:                               ;   in Loop: Header=BB7_4 Depth=1
	s_mov_b64 s[18:19], exec
	v_xad_u32 v18, v19, -1, v9
; %bb.100:                              ;   in Loop: Header=BB7_4 Depth=1
	s_or_b64 exec, exec, s[20:21]
	s_and_b64 s[18:19], s[18:19], exec
.LBB7_101:                              ;   in Loop: Header=BB7_4 Depth=1
	s_or_b64 exec, exec, s[16:17]
	s_and_b64 s[16:17], s[18:19], exec
	s_andn2_saveexec_b64 s[14:15], s[14:15]
	s_cbranch_execz .LBB7_30
.LBB7_102:                              ;   in Loop: Header=BB7_4 Depth=1
	s_mov_b64 s[20:21], exec
	v_mbcnt_lo_u32_b32 v18, s20, 0
	v_mbcnt_hi_u32_b32 v18, s21, v18
	v_cmp_eq_u32_e32 vcc, 0, v18
                                        ; implicit-def: $vgpr19
	s_and_saveexec_b64 s[18:19], vcc
	s_cbranch_execz .LBB7_104
; %bb.103:                              ;   in Loop: Header=BB7_4 Depth=1
	s_bcnt1_i32_b64 s20, s[20:21]
	v_mov_b32_e32 v19, s20
	ds_add_rtn_u32 v19, v17, v19 offset:384
.LBB7_104:                              ;   in Loop: Header=BB7_4 Depth=1
	s_or_b64 exec, exec, s[18:19]
	s_waitcnt lgkmcnt(0)
	v_readfirstlane_b32 s18, v19
	v_add_u32_e32 v18, s18, v18
	s_or_b64 s[16:17], s[16:17], exec
	s_or_b64 exec, exec, s[14:15]
	s_and_saveexec_b64 s[14:15], s[16:17]
	s_cbranch_execnz .LBB7_31
	s_branch .LBB7_32
.LBB7_105:                              ;   in Loop: Header=BB7_4 Depth=1
	v_cmp_eq_u32_e32 vcc, v19, v23
	s_mov_b64 s[18:19], 0
                                        ; implicit-def: $vgpr18
	s_and_saveexec_b64 s[16:17], vcc
	s_cbranch_execz .LBB7_111
; %bb.106:                              ;   in Loop: Header=BB7_4 Depth=1
	s_mov_b64 s[20:21], exec
	v_mbcnt_lo_u32_b32 v18, s20, 0
	v_mbcnt_hi_u32_b32 v18, s21, v18
	v_cmp_eq_u32_e32 vcc, 0, v18
                                        ; implicit-def: $vgpr19
	s_and_saveexec_b64 s[18:19], vcc
	s_cbranch_execz .LBB7_108
; %bb.107:                              ;   in Loop: Header=BB7_4 Depth=1
	s_bcnt1_i32_b64 s20, s[20:21]
	v_mov_b32_e32 v19, s20
	ds_add_rtn_u32 v19, v17, v19 offset:512
.LBB7_108:                              ;   in Loop: Header=BB7_4 Depth=1
	s_or_b64 exec, exec, s[18:19]
	s_waitcnt lgkmcnt(0)
	v_readfirstlane_b32 s18, v19
	v_add_u32_e32 v19, s18, v18
	v_cmp_lt_i32_e32 vcc, v19, v22
	s_mov_b64 s[18:19], 0
                                        ; implicit-def: $vgpr18
	s_and_saveexec_b64 s[20:21], vcc
	s_xor_b64 s[20:21], exec, s[20:21]
; %bb.109:                              ;   in Loop: Header=BB7_4 Depth=1
	s_mov_b64 s[18:19], exec
	v_xad_u32 v18, v19, -1, v9
; %bb.110:                              ;   in Loop: Header=BB7_4 Depth=1
	s_or_b64 exec, exec, s[20:21]
	s_and_b64 s[18:19], s[18:19], exec
.LBB7_111:                              ;   in Loop: Header=BB7_4 Depth=1
	s_or_b64 exec, exec, s[16:17]
	s_and_b64 s[16:17], s[18:19], exec
	s_andn2_saveexec_b64 s[14:15], s[14:15]
	s_cbranch_execz .LBB7_34
.LBB7_112:                              ;   in Loop: Header=BB7_4 Depth=1
	s_mov_b64 s[20:21], exec
	v_mbcnt_lo_u32_b32 v18, s20, 0
	v_mbcnt_hi_u32_b32 v18, s21, v18
	v_cmp_eq_u32_e32 vcc, 0, v18
                                        ; implicit-def: $vgpr19
	s_and_saveexec_b64 s[18:19], vcc
	s_cbranch_execz .LBB7_114
; %bb.113:                              ;   in Loop: Header=BB7_4 Depth=1
	s_bcnt1_i32_b64 s20, s[20:21]
	v_mov_b32_e32 v19, s20
	ds_add_rtn_u32 v19, v17, v19 offset:384
.LBB7_114:                              ;   in Loop: Header=BB7_4 Depth=1
	s_or_b64 exec, exec, s[18:19]
	s_waitcnt lgkmcnt(0)
	v_readfirstlane_b32 s18, v19
	v_add_u32_e32 v18, s18, v18
	s_or_b64 s[16:17], s[16:17], exec
	s_or_b64 exec, exec, s[14:15]
	s_and_saveexec_b64 s[14:15], s[16:17]
	s_cbranch_execz .LBB7_3
.LBB7_115:                              ;   in Loop: Header=BB7_4 Depth=1
	v_ashrrev_i32_e32 v19, 31, v18
	v_lshlrev_b64 v[18:19], 2, v[18:19]
	v_add_co_u32_e32 v28, vcc, v4, v18
	v_addc_co_u32_e32 v29, vcc, v5, v19, vcc
	v_add_co_u32_e32 v18, vcc, v6, v18
	v_addc_co_u32_e32 v19, vcc, v7, v19, vcc
	flat_store_dword v[28:29], v16
	flat_store_dword v[18:19], v26
	s_branch .LBB7_3
.LBB7_116:
	s_or_b64 exec, exec, s[10:11]
.LBB7_117:
	s_or_b64 exec, exec, s[6:7]
	v_cmp_lt_i32_e32 vcc, v10, v8
	s_and_saveexec_b64 s[6:7], vcc
	s_cbranch_execz .LBB7_134
; %bb.118:
	v_lshlrev_b32_e64 v16, v11, -1
	s_mov_b32 s14, 0
	v_mov_b32_e32 v11, 0
	v_lshlrev_b64 v[12:13], 2, v[10:11]
	s_lshl_b32 s22, s13, 2
	s_mov_b64 s[10:11], 0
	v_bfrev_b32_e32 v17, -2
	v_mov_b32_e32 v18, s14
	s_branch .LBB7_120
.LBB7_119:                              ;   in Loop: Header=BB7_120 Depth=1
	s_or_b64 exec, exec, s[14:15]
	v_add_u32_e32 v10, s13, v10
	v_cmp_ge_i32_e32 vcc, v10, v8
	s_or_b64 s[10:11], vcc, s[10:11]
	v_add_co_u32_e32 v12, vcc, s22, v12
	v_addc_co_u32_e32 v13, vcc, v13, v18, vcc
	s_andn2_b64 exec, exec, s[10:11]
	s_cbranch_execz .LBB7_134
.LBB7_120:                              ; =>This Inner Loop Header: Depth=1
	v_add_co_u32_e32 v14, vcc, v0, v12
	v_addc_co_u32_e32 v15, vcc, v1, v13, vcc
	flat_load_dword v19, v[14:15]
	v_add_co_u32_e32 v14, vcc, v2, v12
	v_addc_co_u32_e32 v15, vcc, v3, v13, vcc
	flat_load_dword v20, v[14:15]
	s_mov_b64 s[16:17], 0
	s_waitcnt vmcnt(0) lgkmcnt(0)
	v_cmp_gt_i32_e32 vcc, 0, v19
	v_cndmask_b32_e64 v14, v17, 0, vcc
	v_xor_b32_e32 v14, v14, v19
	v_and_b32_e32 v15, v14, v16
	v_cmp_ge_u32_e32 vcc, v15, v23
                                        ; implicit-def: $vgpr14
	s_and_saveexec_b64 s[14:15], vcc
	s_xor_b64 s[14:15], exec, s[14:15]
	s_cbranch_execnz .LBB7_123
; %bb.121:                              ;   in Loop: Header=BB7_120 Depth=1
	s_andn2_saveexec_b64 s[14:15], s[14:15]
	s_cbranch_execnz .LBB7_130
.LBB7_122:                              ;   in Loop: Header=BB7_120 Depth=1
	s_or_b64 exec, exec, s[14:15]
	s_and_saveexec_b64 s[14:15], s[16:17]
	s_cbranch_execz .LBB7_119
	s_branch .LBB7_133
.LBB7_123:                              ;   in Loop: Header=BB7_120 Depth=1
	v_cmp_eq_u32_e32 vcc, v15, v23
	s_mov_b64 s[18:19], 0
                                        ; implicit-def: $vgpr14
	s_and_saveexec_b64 s[16:17], vcc
	s_cbranch_execz .LBB7_129
; %bb.124:                              ;   in Loop: Header=BB7_120 Depth=1
	s_mov_b64 s[20:21], exec
	v_mbcnt_lo_u32_b32 v14, s20, 0
	v_mbcnt_hi_u32_b32 v14, s21, v14
	v_cmp_eq_u32_e32 vcc, 0, v14
                                        ; implicit-def: $vgpr15
	s_and_saveexec_b64 s[18:19], vcc
	s_cbranch_execz .LBB7_126
; %bb.125:                              ;   in Loop: Header=BB7_120 Depth=1
	s_bcnt1_i32_b64 s20, s[20:21]
	v_mov_b32_e32 v15, s20
	ds_add_rtn_u32 v15, v11, v15 offset:512
.LBB7_126:                              ;   in Loop: Header=BB7_120 Depth=1
	s_or_b64 exec, exec, s[18:19]
	s_waitcnt lgkmcnt(0)
	v_readfirstlane_b32 s18, v15
	v_add_u32_e32 v15, s18, v14
	v_cmp_lt_i32_e32 vcc, v15, v22
	s_mov_b64 s[18:19], 0
                                        ; implicit-def: $vgpr14
	s_and_saveexec_b64 s[20:21], vcc
	s_xor_b64 s[20:21], exec, s[20:21]
; %bb.127:                              ;   in Loop: Header=BB7_120 Depth=1
	s_mov_b64 s[18:19], exec
	v_xad_u32 v14, v15, -1, v9
; %bb.128:                              ;   in Loop: Header=BB7_120 Depth=1
	s_or_b64 exec, exec, s[20:21]
	s_and_b64 s[18:19], s[18:19], exec
.LBB7_129:                              ;   in Loop: Header=BB7_120 Depth=1
	s_or_b64 exec, exec, s[16:17]
	s_and_b64 s[16:17], s[18:19], exec
	s_andn2_saveexec_b64 s[14:15], s[14:15]
	s_cbranch_execz .LBB7_122
.LBB7_130:                              ;   in Loop: Header=BB7_120 Depth=1
	s_mov_b64 s[20:21], exec
	v_mbcnt_lo_u32_b32 v14, s20, 0
	v_mbcnt_hi_u32_b32 v14, s21, v14
	v_cmp_eq_u32_e32 vcc, 0, v14
                                        ; implicit-def: $vgpr15
	s_and_saveexec_b64 s[18:19], vcc
	s_cbranch_execz .LBB7_132
; %bb.131:                              ;   in Loop: Header=BB7_120 Depth=1
	s_bcnt1_i32_b64 s20, s[20:21]
	v_mov_b32_e32 v15, s20
	ds_add_rtn_u32 v15, v11, v15 offset:384
.LBB7_132:                              ;   in Loop: Header=BB7_120 Depth=1
	s_or_b64 exec, exec, s[18:19]
	s_waitcnt lgkmcnt(0)
	v_readfirstlane_b32 s18, v15
	v_add_u32_e32 v14, s18, v14
	s_or_b64 s[16:17], s[16:17], exec
	s_or_b64 exec, exec, s[14:15]
	s_and_saveexec_b64 s[14:15], s[16:17]
	s_cbranch_execz .LBB7_119
.LBB7_133:                              ;   in Loop: Header=BB7_120 Depth=1
	v_ashrrev_i32_e32 v15, 31, v14
	v_lshlrev_b64 v[14:15], 2, v[14:15]
	v_add_co_u32_e32 v24, vcc, v4, v14
	v_addc_co_u32_e32 v25, vcc, v5, v15, vcc
	v_add_co_u32_e32 v14, vcc, v6, v14
	v_addc_co_u32_e32 v15, vcc, v7, v15, vcc
	flat_store_dword v[24:25], v19
	flat_store_dword v[14:15], v20
	s_branch .LBB7_119
.LBB7_134:
	s_or_b64 exec, exec, s[6:7]
                                        ; implicit-def: $vgpr11
                                        ; implicit-def: $vgpr0
                                        ; implicit-def: $vgpr1
                                        ; implicit-def: $vgpr4
                                        ; implicit-def: $vgpr5
                                        ; implicit-def: $vgpr6
                                        ; implicit-def: $vgpr7
                                        ; implicit-def: $vgpr8
                                        ; implicit-def: $vgpr9
                                        ; implicit-def: $vgpr31
                                        ; implicit-def: $vgpr22_vgpr23
.LBB7_135:
	s_andn2_saveexec_b64 s[4:5], s[4:5]
	s_cbranch_execz .LBB7_434
; %bb.136:
	s_load_dword s6, s[8:9], 0x0
	v_mov_b32_e32 v3, 0
	v_and_b32_e32 v10, 15, v0
	v_lshlrev_b32_e64 v34, v11, -1
	v_mov_b32_e32 v11, v3
	s_waitcnt lgkmcnt(0)
	s_cmp_lt_u32 s12, s6
	s_cselect_b32 s6, 12, 18
	s_add_u32 s6, s8, s6
	s_addc_u32 s7, s9, 0
	global_load_ushort v12, v3, s[6:7]
	v_sub_u32_e32 v13, 16, v10
	v_lshrrev_b32_e32 v13, 2, v13
	v_cmp_ne_u64_e32 vcc, 0, v[10:11]
	v_cndmask_b32_e32 v10, 0, v13, vcc
	v_min_i32_e32 v24, v10, v8
	v_ashrrev_i32_e32 v25, 31, v24
	v_sub_u32_e32 v13, v8, v24
	v_lshlrev_b64 v[10:11], 2, v[24:25]
	v_ashrrev_i32_e32 v14, 31, v13
	v_add_co_u32_e32 v25, vcc, v0, v10
	v_lshrrev_b32_e32 v10, 30, v14
	v_add_u32_e32 v10, v13, v10
	v_and_b32_e32 v2, 0x3ff, v31
	v_ashrrev_i32_e32 v26, 2, v10
	v_addc_co_u32_e32 v35, vcc, v1, v11, vcc
	v_ashrrev_i32_e32 v27, 31, v26
	s_mov_b64 s[6:7], 0
	v_mov_b32_e32 v28, v2
	s_waitcnt vmcnt(0)
	v_and_b32_e32 v36, 0xffff, v12
	v_mad_u64_u32 v[30:31], s[8:9], v36, 3, v[2:3]
	v_lshlrev_b32_e32 v37, 2, v36
	v_cmp_lt_u64_e32 vcc, v[30:31], v[26:27]
	s_and_saveexec_b64 s[8:9], vcc
	s_cbranch_execz .LBB7_364
; %bb.137:
	v_mul_lo_u32 v38, v36, 3
	v_lshlrev_b32_e32 v39, 4, v36
	v_bfrev_b32_e32 v48, -2
	v_pk_mov_b32 v[28:29], v[2:3], v[2:3] op_sel:[0,1]
	s_branch .LBB7_139
.LBB7_138:                              ;   in Loop: Header=BB7_139 Depth=1
	s_or_b64 exec, exec, s[10:11]
	v_add_u32_e32 v28, v37, v28
	v_ashrrev_i32_e32 v29, 31, v28
	v_add_co_u32_e32 v30, vcc, v38, v28
	v_addc_co_u32_e32 v31, vcc, 0, v29, vcc
	v_cmp_ge_u64_e32 vcc, v[30:31], v[26:27]
	s_or_b64 s[6:7], vcc, s[6:7]
	s_andn2_b64 exec, exec, s[6:7]
	s_cbranch_execz .LBB7_363
.LBB7_139:                              ; =>This Inner Loop Header: Depth=1
	v_lshlrev_b64 v[10:11], 4, v[28:29]
	v_add_co_u32_e32 v14, vcc, v25, v10
	v_addc_co_u32_e32 v15, vcc, v35, v11, vcc
	flat_load_dwordx4 v[10:13], v[14:15]
	v_add_co_u32_e32 v18, vcc, v14, v39
	v_addc_co_u32_e32 v19, vcc, 0, v15, vcc
	flat_load_dwordx4 v[14:17], v[18:19]
	s_mov_b64 s[12:13], 0
	s_waitcnt vmcnt(0) lgkmcnt(0)
	v_cmp_gt_i32_e32 vcc, 0, v10
	v_cndmask_b32_e64 v20, v48, 0, vcc
	v_xor_b32_e32 v20, v20, v10
	v_and_b32_e32 v21, v20, v34
	v_cmp_ge_u32_e32 vcc, v21, v23
                                        ; implicit-def: $vgpr20
	s_and_saveexec_b64 s[10:11], vcc
	s_xor_b64 s[10:11], exec, s[10:11]
	s_cbranch_execnz .LBB7_222
; %bb.140:                              ;   in Loop: Header=BB7_139 Depth=1
	s_andn2_saveexec_b64 s[10:11], s[10:11]
	s_cbranch_execnz .LBB7_229
.LBB7_141:                              ;   in Loop: Header=BB7_139 Depth=1
	s_or_b64 exec, exec, s[10:11]
	v_lshl_add_u32 v29, v28, 2, v24
	s_and_saveexec_b64 s[10:11], s[12:13]
	s_cbranch_execz .LBB7_143
.LBB7_142:                              ;   in Loop: Header=BB7_139 Depth=1
	v_ashrrev_i32_e32 v21, 31, v20
	v_lshlrev_b64 v[20:21], 2, v[20:21]
	v_add_co_u32_e32 v32, vcc, v4, v20
	v_addc_co_u32_e32 v33, vcc, v5, v21, vcc
	v_add_co_u32_e32 v20, vcc, v6, v20
	v_addc_co_u32_e32 v21, vcc, v7, v21, vcc
	flat_store_dword v[32:33], v10
	flat_store_dword v[20:21], v29
.LBB7_143:                              ;   in Loop: Header=BB7_139 Depth=1
	s_or_b64 exec, exec, s[10:11]
	v_cmp_gt_i32_e32 vcc, 0, v11
	v_cndmask_b32_e64 v10, v48, 0, vcc
	v_xor_b32_e32 v10, v10, v11
	v_and_b32_e32 v10, v10, v34
	v_cmp_ge_u32_e32 vcc, v10, v23
	s_mov_b64 s[12:13], 0
                                        ; implicit-def: $vgpr20
	s_and_saveexec_b64 s[10:11], vcc
	s_xor_b64 s[10:11], exec, s[10:11]
	s_cbranch_execnz .LBB7_232
; %bb.144:                              ;   in Loop: Header=BB7_139 Depth=1
	s_andn2_saveexec_b64 s[10:11], s[10:11]
	s_cbranch_execnz .LBB7_239
.LBB7_145:                              ;   in Loop: Header=BB7_139 Depth=1
	s_or_b64 exec, exec, s[10:11]
	s_and_saveexec_b64 s[10:11], s[12:13]
	s_cbranch_execz .LBB7_147
.LBB7_146:                              ;   in Loop: Header=BB7_139 Depth=1
	v_ashrrev_i32_e32 v21, 31, v20
	v_lshlrev_b64 v[20:21], 2, v[20:21]
	v_add_co_u32_e32 v32, vcc, v4, v20
	v_addc_co_u32_e32 v33, vcc, v5, v21, vcc
	v_add_co_u32_e32 v10, vcc, v6, v20
	v_add_u32_e32 v49, 1, v29
	flat_store_dword v[32:33], v11
	v_addc_co_u32_e32 v11, vcc, v7, v21, vcc
	flat_store_dword v[10:11], v49
.LBB7_147:                              ;   in Loop: Header=BB7_139 Depth=1
	s_or_b64 exec, exec, s[10:11]
	v_cmp_gt_i32_e32 vcc, 0, v12
	v_cndmask_b32_e64 v10, v48, 0, vcc
	v_xor_b32_e32 v10, v10, v12
	v_and_b32_e32 v11, v10, v34
	v_cmp_ge_u32_e32 vcc, v11, v23
	s_mov_b64 s[12:13], 0
                                        ; implicit-def: $vgpr10
	s_and_saveexec_b64 s[10:11], vcc
	s_xor_b64 s[10:11], exec, s[10:11]
	s_cbranch_execnz .LBB7_242
; %bb.148:                              ;   in Loop: Header=BB7_139 Depth=1
	s_andn2_saveexec_b64 s[10:11], s[10:11]
	s_cbranch_execnz .LBB7_249
.LBB7_149:                              ;   in Loop: Header=BB7_139 Depth=1
	s_or_b64 exec, exec, s[10:11]
	s_and_saveexec_b64 s[10:11], s[12:13]
	s_cbranch_execz .LBB7_151
.LBB7_150:                              ;   in Loop: Header=BB7_139 Depth=1
	v_ashrrev_i32_e32 v11, 31, v10
	v_lshlrev_b64 v[10:11], 2, v[10:11]
	v_add_co_u32_e32 v20, vcc, v4, v10
	v_addc_co_u32_e32 v21, vcc, v5, v11, vcc
	v_add_co_u32_e32 v10, vcc, v6, v10
	v_add_u32_e32 v32, 2, v29
	v_addc_co_u32_e32 v11, vcc, v7, v11, vcc
	flat_store_dword v[20:21], v12
	flat_store_dword v[10:11], v32
.LBB7_151:                              ;   in Loop: Header=BB7_139 Depth=1
	s_or_b64 exec, exec, s[10:11]
	v_cmp_gt_i32_e32 vcc, 0, v13
	v_cndmask_b32_e64 v10, v48, 0, vcc
	v_xor_b32_e32 v10, v10, v13
	v_and_b32_e32 v11, v10, v34
	v_cmp_ge_u32_e32 vcc, v11, v23
	s_mov_b64 s[12:13], 0
                                        ; implicit-def: $vgpr10
	s_and_saveexec_b64 s[10:11], vcc
	s_xor_b64 s[10:11], exec, s[10:11]
	s_cbranch_execnz .LBB7_252
; %bb.152:                              ;   in Loop: Header=BB7_139 Depth=1
	s_andn2_saveexec_b64 s[10:11], s[10:11]
	s_cbranch_execnz .LBB7_259
.LBB7_153:                              ;   in Loop: Header=BB7_139 Depth=1
	s_or_b64 exec, exec, s[10:11]
	s_and_saveexec_b64 s[10:11], s[12:13]
	s_cbranch_execz .LBB7_155
.LBB7_154:                              ;   in Loop: Header=BB7_139 Depth=1
	v_ashrrev_i32_e32 v11, 31, v10
	v_lshlrev_b64 v[10:11], 2, v[10:11]
	v_add_co_u32_e32 v20, vcc, v4, v10
	v_addc_co_u32_e32 v21, vcc, v5, v11, vcc
	v_add_co_u32_e32 v10, vcc, v6, v10
	v_add_u32_e32 v12, 3, v29
	v_addc_co_u32_e32 v11, vcc, v7, v11, vcc
	flat_store_dword v[20:21], v13
	flat_store_dword v[10:11], v12
.LBB7_155:                              ;   in Loop: Header=BB7_139 Depth=1
	s_or_b64 exec, exec, s[10:11]
	v_add_co_u32_e32 v10, vcc, v18, v39
	v_addc_co_u32_e32 v11, vcc, 0, v19, vcc
	v_lshlrev_b64 v[12:13], 4, v[30:31]
	v_add_co_u32_e32 v12, vcc, v25, v12
	v_addc_co_u32_e32 v13, vcc, v35, v13, vcc
	flat_load_dwordx4 v[18:21], v[10:11]
	s_nop 0
	flat_load_dwordx4 v[10:13], v[12:13]
	v_cmp_gt_i32_e32 vcc, 0, v14
	v_cndmask_b32_e64 v29, v48, 0, vcc
	v_xor_b32_e32 v29, v29, v14
	v_and_b32_e32 v29, v29, v34
	v_cmp_ge_u32_e32 vcc, v29, v23
	s_mov_b64 s[12:13], 0
                                        ; implicit-def: $vgpr32
	s_and_saveexec_b64 s[10:11], vcc
	s_xor_b64 s[10:11], exec, s[10:11]
	s_cbranch_execz .LBB7_163
; %bb.156:                              ;   in Loop: Header=BB7_139 Depth=1
	v_cmp_eq_u32_e32 vcc, v29, v23
	s_mov_b64 s[14:15], 0
                                        ; implicit-def: $vgpr32
	s_and_saveexec_b64 s[12:13], vcc
	s_cbranch_execz .LBB7_162
; %bb.157:                              ;   in Loop: Header=BB7_139 Depth=1
	s_mov_b64 s[16:17], exec
	v_mbcnt_lo_u32_b32 v29, s16, 0
	v_mbcnt_hi_u32_b32 v29, s17, v29
	v_cmp_eq_u32_e32 vcc, 0, v29
                                        ; implicit-def: $vgpr31
	s_and_saveexec_b64 s[14:15], vcc
	s_cbranch_execz .LBB7_159
; %bb.158:                              ;   in Loop: Header=BB7_139 Depth=1
	s_bcnt1_i32_b64 s16, s[16:17]
	v_mov_b32_e32 v31, s16
	ds_add_rtn_u32 v31, v3, v31 offset:512
.LBB7_159:                              ;   in Loop: Header=BB7_139 Depth=1
	s_or_b64 exec, exec, s[14:15]
	s_waitcnt lgkmcnt(0)
	v_readfirstlane_b32 s14, v31
	v_add_u32_e32 v29, s14, v29
	v_cmp_lt_i32_e32 vcc, v29, v22
	s_mov_b64 s[14:15], 0
                                        ; implicit-def: $vgpr32
	s_and_saveexec_b64 s[16:17], vcc
	s_xor_b64 s[16:17], exec, s[16:17]
; %bb.160:                              ;   in Loop: Header=BB7_139 Depth=1
	s_mov_b64 s[14:15], exec
	v_xad_u32 v32, v29, -1, v9
; %bb.161:                              ;   in Loop: Header=BB7_139 Depth=1
	s_or_b64 exec, exec, s[16:17]
	s_and_b64 s[14:15], s[14:15], exec
.LBB7_162:                              ;   in Loop: Header=BB7_139 Depth=1
	s_or_b64 exec, exec, s[12:13]
	s_and_b64 s[12:13], s[14:15], exec
.LBB7_163:                              ;   in Loop: Header=BB7_139 Depth=1
	s_andn2_saveexec_b64 s[10:11], s[10:11]
	s_cbranch_execz .LBB7_167
; %bb.164:                              ;   in Loop: Header=BB7_139 Depth=1
	s_mov_b64 s[16:17], exec
	v_mbcnt_lo_u32_b32 v29, s16, 0
	v_mbcnt_hi_u32_b32 v29, s17, v29
	v_cmp_eq_u32_e32 vcc, 0, v29
                                        ; implicit-def: $vgpr31
	s_and_saveexec_b64 s[14:15], vcc
	s_cbranch_execz .LBB7_166
; %bb.165:                              ;   in Loop: Header=BB7_139 Depth=1
	s_bcnt1_i32_b64 s16, s[16:17]
	v_mov_b32_e32 v31, s16
	ds_add_rtn_u32 v31, v3, v31 offset:384
.LBB7_166:                              ;   in Loop: Header=BB7_139 Depth=1
	s_or_b64 exec, exec, s[14:15]
	s_waitcnt lgkmcnt(0)
	v_readfirstlane_b32 s14, v31
	v_add_u32_e32 v32, s14, v29
	s_or_b64 s[12:13], s[12:13], exec
.LBB7_167:                              ;   in Loop: Header=BB7_139 Depth=1
	s_or_b64 exec, exec, s[10:11]
	v_add_co_u32_e32 v29, vcc, v28, v36
	v_lshl_add_u32 v31, v29, 2, v24
	s_and_saveexec_b64 s[10:11], s[12:13]
	s_cbranch_execz .LBB7_169
; %bb.168:                              ;   in Loop: Header=BB7_139 Depth=1
	v_ashrrev_i32_e32 v33, 31, v32
	v_lshlrev_b64 v[32:33], 2, v[32:33]
	v_add_co_u32_e32 v50, vcc, v4, v32
	v_addc_co_u32_e32 v51, vcc, v5, v33, vcc
	v_add_co_u32_e32 v32, vcc, v6, v32
	v_addc_co_u32_e32 v33, vcc, v7, v33, vcc
	flat_store_dword v[50:51], v14
	flat_store_dword v[32:33], v31
.LBB7_169:                              ;   in Loop: Header=BB7_139 Depth=1
	s_or_b64 exec, exec, s[10:11]
	v_cmp_gt_i32_e32 vcc, 0, v15
	v_cndmask_b32_e64 v14, v48, 0, vcc
	v_xor_b32_e32 v14, v14, v15
	v_and_b32_e32 v14, v14, v34
	v_cmp_ge_u32_e32 vcc, v14, v23
	s_mov_b64 s[12:13], 0
                                        ; implicit-def: $vgpr32
	s_and_saveexec_b64 s[10:11], vcc
	s_xor_b64 s[10:11], exec, s[10:11]
	s_cbranch_execnz .LBB7_262
; %bb.170:                              ;   in Loop: Header=BB7_139 Depth=1
	s_andn2_saveexec_b64 s[10:11], s[10:11]
	s_cbranch_execnz .LBB7_269
.LBB7_171:                              ;   in Loop: Header=BB7_139 Depth=1
	s_or_b64 exec, exec, s[10:11]
	s_and_saveexec_b64 s[10:11], s[12:13]
	s_cbranch_execz .LBB7_173
.LBB7_172:                              ;   in Loop: Header=BB7_139 Depth=1
	v_ashrrev_i32_e32 v33, 31, v32
	v_lshlrev_b64 v[32:33], 2, v[32:33]
	v_add_co_u32_e32 v50, vcc, v4, v32
	v_addc_co_u32_e32 v51, vcc, v5, v33, vcc
	v_add_co_u32_e32 v14, vcc, v6, v32
	v_add_u32_e32 v49, 1, v31
	flat_store_dword v[50:51], v15
	v_addc_co_u32_e32 v15, vcc, v7, v33, vcc
	flat_store_dword v[14:15], v49
.LBB7_173:                              ;   in Loop: Header=BB7_139 Depth=1
	s_or_b64 exec, exec, s[10:11]
	v_cmp_gt_i32_e32 vcc, 0, v16
	v_cndmask_b32_e64 v14, v48, 0, vcc
	v_xor_b32_e32 v14, v14, v16
	v_and_b32_e32 v15, v14, v34
	v_cmp_ge_u32_e32 vcc, v15, v23
	s_mov_b64 s[12:13], 0
                                        ; implicit-def: $vgpr14
	s_and_saveexec_b64 s[10:11], vcc
	s_xor_b64 s[10:11], exec, s[10:11]
	s_cbranch_execnz .LBB7_272
; %bb.174:                              ;   in Loop: Header=BB7_139 Depth=1
	s_andn2_saveexec_b64 s[10:11], s[10:11]
	s_cbranch_execnz .LBB7_279
.LBB7_175:                              ;   in Loop: Header=BB7_139 Depth=1
	s_or_b64 exec, exec, s[10:11]
	s_and_saveexec_b64 s[10:11], s[12:13]
	s_cbranch_execz .LBB7_177
.LBB7_176:                              ;   in Loop: Header=BB7_139 Depth=1
	v_ashrrev_i32_e32 v15, 31, v14
	v_lshlrev_b64 v[14:15], 2, v[14:15]
	v_add_co_u32_e32 v32, vcc, v4, v14
	v_addc_co_u32_e32 v33, vcc, v5, v15, vcc
	v_add_co_u32_e32 v14, vcc, v6, v14
	v_add_u32_e32 v49, 2, v31
	v_addc_co_u32_e32 v15, vcc, v7, v15, vcc
	flat_store_dword v[32:33], v16
	flat_store_dword v[14:15], v49
.LBB7_177:                              ;   in Loop: Header=BB7_139 Depth=1
	s_or_b64 exec, exec, s[10:11]
	v_cmp_gt_i32_e32 vcc, 0, v17
	v_cndmask_b32_e64 v14, v48, 0, vcc
	v_xor_b32_e32 v14, v14, v17
	v_and_b32_e32 v15, v14, v34
	v_cmp_ge_u32_e32 vcc, v15, v23
	s_mov_b64 s[12:13], 0
                                        ; implicit-def: $vgpr14
	s_and_saveexec_b64 s[10:11], vcc
	s_xor_b64 s[10:11], exec, s[10:11]
	s_cbranch_execnz .LBB7_282
; %bb.178:                              ;   in Loop: Header=BB7_139 Depth=1
	s_andn2_saveexec_b64 s[10:11], s[10:11]
	s_cbranch_execnz .LBB7_289
.LBB7_179:                              ;   in Loop: Header=BB7_139 Depth=1
	s_or_b64 exec, exec, s[10:11]
	s_and_saveexec_b64 s[10:11], s[12:13]
	s_cbranch_execz .LBB7_181
.LBB7_180:                              ;   in Loop: Header=BB7_139 Depth=1
	v_ashrrev_i32_e32 v15, 31, v14
	v_lshlrev_b64 v[14:15], 2, v[14:15]
	v_add_co_u32_e32 v32, vcc, v4, v14
	v_addc_co_u32_e32 v33, vcc, v5, v15, vcc
	v_add_co_u32_e32 v14, vcc, v6, v14
	v_add_u32_e32 v16, 3, v31
	v_addc_co_u32_e32 v15, vcc, v7, v15, vcc
	flat_store_dword v[32:33], v17
	flat_store_dword v[14:15], v16
.LBB7_181:                              ;   in Loop: Header=BB7_139 Depth=1
	s_or_b64 exec, exec, s[10:11]
	s_waitcnt vmcnt(0) lgkmcnt(0)
	v_cmp_gt_i32_e32 vcc, 0, v18
	v_cndmask_b32_e64 v14, v48, 0, vcc
	v_xor_b32_e32 v14, v14, v18
	v_and_b32_e32 v15, v14, v34
	v_cmp_ge_u32_e32 vcc, v15, v23
	s_mov_b64 s[12:13], 0
                                        ; implicit-def: $vgpr14
	s_and_saveexec_b64 s[10:11], vcc
	s_xor_b64 s[10:11], exec, s[10:11]
	s_cbranch_execz .LBB7_189
; %bb.182:                              ;   in Loop: Header=BB7_139 Depth=1
	v_cmp_eq_u32_e32 vcc, v15, v23
	s_mov_b64 s[14:15], 0
                                        ; implicit-def: $vgpr14
	s_and_saveexec_b64 s[12:13], vcc
	s_cbranch_execz .LBB7_188
; %bb.183:                              ;   in Loop: Header=BB7_139 Depth=1
	s_mov_b64 s[16:17], exec
	v_mbcnt_lo_u32_b32 v14, s16, 0
	v_mbcnt_hi_u32_b32 v14, s17, v14
	v_cmp_eq_u32_e32 vcc, 0, v14
                                        ; implicit-def: $vgpr15
	s_and_saveexec_b64 s[14:15], vcc
	s_cbranch_execz .LBB7_185
; %bb.184:                              ;   in Loop: Header=BB7_139 Depth=1
	s_bcnt1_i32_b64 s16, s[16:17]
	v_mov_b32_e32 v15, s16
	ds_add_rtn_u32 v15, v3, v15 offset:512
.LBB7_185:                              ;   in Loop: Header=BB7_139 Depth=1
	s_or_b64 exec, exec, s[14:15]
	s_waitcnt lgkmcnt(0)
	v_readfirstlane_b32 s14, v15
	v_add_u32_e32 v15, s14, v14
	v_cmp_lt_i32_e32 vcc, v15, v22
	s_mov_b64 s[14:15], 0
                                        ; implicit-def: $vgpr14
	s_and_saveexec_b64 s[16:17], vcc
	s_xor_b64 s[16:17], exec, s[16:17]
; %bb.186:                              ;   in Loop: Header=BB7_139 Depth=1
	s_mov_b64 s[14:15], exec
	v_xad_u32 v14, v15, -1, v9
; %bb.187:                              ;   in Loop: Header=BB7_139 Depth=1
	s_or_b64 exec, exec, s[16:17]
	s_and_b64 s[14:15], s[14:15], exec
.LBB7_188:                              ;   in Loop: Header=BB7_139 Depth=1
	s_or_b64 exec, exec, s[12:13]
	s_and_b64 s[12:13], s[14:15], exec
.LBB7_189:                              ;   in Loop: Header=BB7_139 Depth=1
	s_andn2_saveexec_b64 s[10:11], s[10:11]
	s_cbranch_execz .LBB7_193
; %bb.190:                              ;   in Loop: Header=BB7_139 Depth=1
	s_mov_b64 s[16:17], exec
	v_mbcnt_lo_u32_b32 v14, s16, 0
	v_mbcnt_hi_u32_b32 v14, s17, v14
	v_cmp_eq_u32_e32 vcc, 0, v14
                                        ; implicit-def: $vgpr15
	s_and_saveexec_b64 s[14:15], vcc
	s_cbranch_execz .LBB7_192
; %bb.191:                              ;   in Loop: Header=BB7_139 Depth=1
	s_bcnt1_i32_b64 s16, s[16:17]
	v_mov_b32_e32 v15, s16
	ds_add_rtn_u32 v15, v3, v15 offset:384
.LBB7_192:                              ;   in Loop: Header=BB7_139 Depth=1
	s_or_b64 exec, exec, s[14:15]
	s_waitcnt lgkmcnt(0)
	v_readfirstlane_b32 s14, v15
	v_add_u32_e32 v14, s14, v14
	s_or_b64 s[12:13], s[12:13], exec
.LBB7_193:                              ;   in Loop: Header=BB7_139 Depth=1
	s_or_b64 exec, exec, s[10:11]
	v_add_u32_e32 v15, v29, v36
	v_lshl_add_u32 v16, v15, 2, v24
	s_and_saveexec_b64 s[10:11], s[12:13]
	s_cbranch_execz .LBB7_195
; %bb.194:                              ;   in Loop: Header=BB7_139 Depth=1
	v_ashrrev_i32_e32 v15, 31, v14
	v_lshlrev_b64 v[14:15], 2, v[14:15]
	v_add_co_u32_e32 v32, vcc, v4, v14
	v_addc_co_u32_e32 v33, vcc, v5, v15, vcc
	v_add_co_u32_e32 v14, vcc, v6, v14
	v_addc_co_u32_e32 v15, vcc, v7, v15, vcc
	flat_store_dword v[32:33], v18
	flat_store_dword v[14:15], v16
.LBB7_195:                              ;   in Loop: Header=BB7_139 Depth=1
	s_or_b64 exec, exec, s[10:11]
	v_cmp_gt_i32_e32 vcc, 0, v19
	v_cndmask_b32_e64 v14, v48, 0, vcc
	v_xor_b32_e32 v14, v14, v19
	v_and_b32_e32 v15, v14, v34
	v_cmp_ge_u32_e32 vcc, v15, v23
	s_mov_b64 s[12:13], 0
                                        ; implicit-def: $vgpr14
	s_and_saveexec_b64 s[10:11], vcc
	s_xor_b64 s[10:11], exec, s[10:11]
	s_cbranch_execnz .LBB7_292
; %bb.196:                              ;   in Loop: Header=BB7_139 Depth=1
	s_andn2_saveexec_b64 s[10:11], s[10:11]
	s_cbranch_execnz .LBB7_299
.LBB7_197:                              ;   in Loop: Header=BB7_139 Depth=1
	s_or_b64 exec, exec, s[10:11]
	s_and_saveexec_b64 s[10:11], s[12:13]
	s_cbranch_execz .LBB7_199
.LBB7_198:                              ;   in Loop: Header=BB7_139 Depth=1
	v_ashrrev_i32_e32 v15, 31, v14
	v_lshlrev_b64 v[14:15], 2, v[14:15]
	v_add_co_u32_e32 v32, vcc, v4, v14
	v_addc_co_u32_e32 v33, vcc, v5, v15, vcc
	v_add_co_u32_e32 v14, vcc, v6, v14
	v_add_u32_e32 v17, 1, v16
	v_addc_co_u32_e32 v15, vcc, v7, v15, vcc
	flat_store_dword v[32:33], v19
	flat_store_dword v[14:15], v17
.LBB7_199:                              ;   in Loop: Header=BB7_139 Depth=1
	s_or_b64 exec, exec, s[10:11]
	v_cmp_gt_i32_e32 vcc, 0, v20
	v_cndmask_b32_e64 v14, v48, 0, vcc
	v_xor_b32_e32 v14, v14, v20
	v_and_b32_e32 v15, v14, v34
	v_cmp_ge_u32_e32 vcc, v15, v23
	s_mov_b64 s[12:13], 0
                                        ; implicit-def: $vgpr14
	s_and_saveexec_b64 s[10:11], vcc
	s_xor_b64 s[10:11], exec, s[10:11]
	s_cbranch_execnz .LBB7_302
; %bb.200:                              ;   in Loop: Header=BB7_139 Depth=1
	s_andn2_saveexec_b64 s[10:11], s[10:11]
	s_cbranch_execnz .LBB7_309
.LBB7_201:                              ;   in Loop: Header=BB7_139 Depth=1
	s_or_b64 exec, exec, s[10:11]
	s_and_saveexec_b64 s[10:11], s[12:13]
	s_cbranch_execz .LBB7_203
.LBB7_202:                              ;   in Loop: Header=BB7_139 Depth=1
	v_ashrrev_i32_e32 v15, 31, v14
	v_lshlrev_b64 v[14:15], 2, v[14:15]
	v_add_co_u32_e32 v18, vcc, v4, v14
	v_addc_co_u32_e32 v19, vcc, v5, v15, vcc
	v_add_co_u32_e32 v14, vcc, v6, v14
	v_add_u32_e32 v17, 2, v16
	v_addc_co_u32_e32 v15, vcc, v7, v15, vcc
	flat_store_dword v[18:19], v20
	flat_store_dword v[14:15], v17
.LBB7_203:                              ;   in Loop: Header=BB7_139 Depth=1
	s_or_b64 exec, exec, s[10:11]
	v_cmp_gt_i32_e32 vcc, 0, v21
	v_cndmask_b32_e64 v14, v48, 0, vcc
	v_xor_b32_e32 v14, v14, v21
	v_and_b32_e32 v15, v14, v34
	v_cmp_ge_u32_e32 vcc, v15, v23
	s_mov_b64 s[12:13], 0
                                        ; implicit-def: $vgpr14
	s_and_saveexec_b64 s[10:11], vcc
	s_xor_b64 s[10:11], exec, s[10:11]
	s_cbranch_execnz .LBB7_312
; %bb.204:                              ;   in Loop: Header=BB7_139 Depth=1
	s_andn2_saveexec_b64 s[10:11], s[10:11]
	s_cbranch_execnz .LBB7_319
.LBB7_205:                              ;   in Loop: Header=BB7_139 Depth=1
	s_or_b64 exec, exec, s[10:11]
	s_and_saveexec_b64 s[10:11], s[12:13]
	s_cbranch_execz .LBB7_207
.LBB7_206:                              ;   in Loop: Header=BB7_139 Depth=1
	v_ashrrev_i32_e32 v15, 31, v14
	v_lshlrev_b64 v[14:15], 2, v[14:15]
	v_add_u32_e32 v18, 3, v16
	v_add_co_u32_e32 v16, vcc, v4, v14
	v_addc_co_u32_e32 v17, vcc, v5, v15, vcc
	v_add_co_u32_e32 v14, vcc, v6, v14
	v_addc_co_u32_e32 v15, vcc, v7, v15, vcc
	flat_store_dword v[16:17], v21
	flat_store_dword v[14:15], v18
.LBB7_207:                              ;   in Loop: Header=BB7_139 Depth=1
	s_or_b64 exec, exec, s[10:11]
	v_cmp_gt_i32_e32 vcc, 0, v10
	v_cndmask_b32_e64 v14, v48, 0, vcc
	v_xor_b32_e32 v14, v14, v10
	v_and_b32_e32 v15, v14, v34
	v_cmp_ge_u32_e32 vcc, v15, v23
	s_mov_b64 s[12:13], 0
                                        ; implicit-def: $vgpr14
	s_and_saveexec_b64 s[10:11], vcc
	s_xor_b64 s[10:11], exec, s[10:11]
	s_cbranch_execnz .LBB7_322
; %bb.208:                              ;   in Loop: Header=BB7_139 Depth=1
	s_andn2_saveexec_b64 s[10:11], s[10:11]
	s_cbranch_execnz .LBB7_329
.LBB7_209:                              ;   in Loop: Header=BB7_139 Depth=1
	s_or_b64 exec, exec, s[10:11]
	v_lshl_add_u32 v16, v30, 2, v24
	s_and_saveexec_b64 s[10:11], s[12:13]
	s_cbranch_execz .LBB7_211
.LBB7_210:                              ;   in Loop: Header=BB7_139 Depth=1
	v_ashrrev_i32_e32 v15, 31, v14
	v_lshlrev_b64 v[14:15], 2, v[14:15]
	v_add_co_u32_e32 v18, vcc, v4, v14
	v_addc_co_u32_e32 v19, vcc, v5, v15, vcc
	v_add_co_u32_e32 v14, vcc, v6, v14
	v_addc_co_u32_e32 v15, vcc, v7, v15, vcc
	flat_store_dword v[18:19], v10
	flat_store_dword v[14:15], v16
.LBB7_211:                              ;   in Loop: Header=BB7_139 Depth=1
	s_or_b64 exec, exec, s[10:11]
	v_cmp_gt_i32_e32 vcc, 0, v11
	v_cndmask_b32_e64 v10, v48, 0, vcc
	v_xor_b32_e32 v10, v10, v11
	v_and_b32_e32 v10, v10, v34
	v_cmp_ge_u32_e32 vcc, v10, v23
	s_mov_b64 s[12:13], 0
                                        ; implicit-def: $vgpr14
	s_and_saveexec_b64 s[10:11], vcc
	s_xor_b64 s[10:11], exec, s[10:11]
	s_cbranch_execnz .LBB7_332
; %bb.212:                              ;   in Loop: Header=BB7_139 Depth=1
	s_andn2_saveexec_b64 s[10:11], s[10:11]
	s_cbranch_execnz .LBB7_339
.LBB7_213:                              ;   in Loop: Header=BB7_139 Depth=1
	s_or_b64 exec, exec, s[10:11]
	s_and_saveexec_b64 s[10:11], s[12:13]
	s_cbranch_execz .LBB7_215
.LBB7_214:                              ;   in Loop: Header=BB7_139 Depth=1
	v_ashrrev_i32_e32 v15, 31, v14
	v_lshlrev_b64 v[14:15], 2, v[14:15]
	v_add_co_u32_e32 v18, vcc, v4, v14
	v_addc_co_u32_e32 v19, vcc, v5, v15, vcc
	v_add_co_u32_e32 v10, vcc, v6, v14
	v_add_u32_e32 v17, 1, v16
	flat_store_dword v[18:19], v11
	v_addc_co_u32_e32 v11, vcc, v7, v15, vcc
	flat_store_dword v[10:11], v17
.LBB7_215:                              ;   in Loop: Header=BB7_139 Depth=1
	s_or_b64 exec, exec, s[10:11]
	v_cmp_gt_i32_e32 vcc, 0, v12
	v_cndmask_b32_e64 v10, v48, 0, vcc
	v_xor_b32_e32 v10, v10, v12
	v_and_b32_e32 v11, v10, v34
	v_cmp_ge_u32_e32 vcc, v11, v23
	s_mov_b64 s[12:13], 0
                                        ; implicit-def: $vgpr10
	s_and_saveexec_b64 s[10:11], vcc
	s_xor_b64 s[10:11], exec, s[10:11]
	s_cbranch_execnz .LBB7_342
; %bb.216:                              ;   in Loop: Header=BB7_139 Depth=1
	s_andn2_saveexec_b64 s[10:11], s[10:11]
	s_cbranch_execnz .LBB7_349
.LBB7_217:                              ;   in Loop: Header=BB7_139 Depth=1
	s_or_b64 exec, exec, s[10:11]
	s_and_saveexec_b64 s[10:11], s[12:13]
	s_cbranch_execz .LBB7_219
.LBB7_218:                              ;   in Loop: Header=BB7_139 Depth=1
	v_ashrrev_i32_e32 v11, 31, v10
	v_lshlrev_b64 v[10:11], 2, v[10:11]
	v_add_co_u32_e32 v14, vcc, v4, v10
	v_addc_co_u32_e32 v15, vcc, v5, v11, vcc
	v_add_co_u32_e32 v10, vcc, v6, v10
	v_add_u32_e32 v17, 2, v16
	v_addc_co_u32_e32 v11, vcc, v7, v11, vcc
	flat_store_dword v[14:15], v12
	flat_store_dword v[10:11], v17
.LBB7_219:                              ;   in Loop: Header=BB7_139 Depth=1
	s_or_b64 exec, exec, s[10:11]
	v_cmp_gt_i32_e32 vcc, 0, v13
	v_cndmask_b32_e64 v10, v48, 0, vcc
	v_xor_b32_e32 v10, v10, v13
	v_and_b32_e32 v11, v10, v34
	v_cmp_ge_u32_e32 vcc, v11, v23
	s_mov_b64 s[12:13], 0
                                        ; implicit-def: $vgpr10
	s_and_saveexec_b64 s[10:11], vcc
	s_xor_b64 s[10:11], exec, s[10:11]
	s_cbranch_execnz .LBB7_352
; %bb.220:                              ;   in Loop: Header=BB7_139 Depth=1
	s_andn2_saveexec_b64 s[10:11], s[10:11]
	s_cbranch_execnz .LBB7_359
.LBB7_221:                              ;   in Loop: Header=BB7_139 Depth=1
	s_or_b64 exec, exec, s[10:11]
	s_and_saveexec_b64 s[10:11], s[12:13]
	s_cbranch_execz .LBB7_138
	s_branch .LBB7_362
.LBB7_222:                              ;   in Loop: Header=BB7_139 Depth=1
	v_cmp_eq_u32_e32 vcc, v21, v23
	s_mov_b64 s[14:15], 0
                                        ; implicit-def: $vgpr20
	s_and_saveexec_b64 s[12:13], vcc
	s_cbranch_execz .LBB7_228
; %bb.223:                              ;   in Loop: Header=BB7_139 Depth=1
	s_mov_b64 s[16:17], exec
	v_mbcnt_lo_u32_b32 v20, s16, 0
	v_mbcnt_hi_u32_b32 v20, s17, v20
	v_cmp_eq_u32_e32 vcc, 0, v20
                                        ; implicit-def: $vgpr21
	s_and_saveexec_b64 s[14:15], vcc
	s_cbranch_execz .LBB7_225
; %bb.224:                              ;   in Loop: Header=BB7_139 Depth=1
	s_bcnt1_i32_b64 s16, s[16:17]
	v_mov_b32_e32 v21, s16
	ds_add_rtn_u32 v21, v3, v21 offset:512
.LBB7_225:                              ;   in Loop: Header=BB7_139 Depth=1
	s_or_b64 exec, exec, s[14:15]
	s_waitcnt lgkmcnt(0)
	v_readfirstlane_b32 s14, v21
	v_add_u32_e32 v21, s14, v20
	v_cmp_lt_i32_e32 vcc, v21, v22
	s_mov_b64 s[14:15], 0
                                        ; implicit-def: $vgpr20
	s_and_saveexec_b64 s[16:17], vcc
	s_xor_b64 s[16:17], exec, s[16:17]
; %bb.226:                              ;   in Loop: Header=BB7_139 Depth=1
	s_mov_b64 s[14:15], exec
	v_xad_u32 v20, v21, -1, v9
; %bb.227:                              ;   in Loop: Header=BB7_139 Depth=1
	s_or_b64 exec, exec, s[16:17]
	s_and_b64 s[14:15], s[14:15], exec
.LBB7_228:                              ;   in Loop: Header=BB7_139 Depth=1
	s_or_b64 exec, exec, s[12:13]
	s_and_b64 s[12:13], s[14:15], exec
	s_andn2_saveexec_b64 s[10:11], s[10:11]
	s_cbranch_execz .LBB7_141
.LBB7_229:                              ;   in Loop: Header=BB7_139 Depth=1
	s_mov_b64 s[16:17], exec
	v_mbcnt_lo_u32_b32 v20, s16, 0
	v_mbcnt_hi_u32_b32 v20, s17, v20
	v_cmp_eq_u32_e32 vcc, 0, v20
                                        ; implicit-def: $vgpr21
	s_and_saveexec_b64 s[14:15], vcc
	s_cbranch_execz .LBB7_231
; %bb.230:                              ;   in Loop: Header=BB7_139 Depth=1
	s_bcnt1_i32_b64 s16, s[16:17]
	v_mov_b32_e32 v21, s16
	ds_add_rtn_u32 v21, v3, v21 offset:384
.LBB7_231:                              ;   in Loop: Header=BB7_139 Depth=1
	s_or_b64 exec, exec, s[14:15]
	s_waitcnt lgkmcnt(0)
	v_readfirstlane_b32 s14, v21
	v_add_u32_e32 v20, s14, v20
	s_or_b64 s[12:13], s[12:13], exec
	s_or_b64 exec, exec, s[10:11]
	v_lshl_add_u32 v29, v28, 2, v24
	s_and_saveexec_b64 s[10:11], s[12:13]
	s_cbranch_execnz .LBB7_142
	s_branch .LBB7_143
.LBB7_232:                              ;   in Loop: Header=BB7_139 Depth=1
	v_cmp_eq_u32_e32 vcc, v10, v23
	s_mov_b64 s[14:15], 0
                                        ; implicit-def: $vgpr20
	s_and_saveexec_b64 s[12:13], vcc
	s_cbranch_execz .LBB7_238
; %bb.233:                              ;   in Loop: Header=BB7_139 Depth=1
	s_mov_b64 s[16:17], exec
	v_mbcnt_lo_u32_b32 v10, s16, 0
	v_mbcnt_hi_u32_b32 v10, s17, v10
	v_cmp_eq_u32_e32 vcc, 0, v10
                                        ; implicit-def: $vgpr20
	s_and_saveexec_b64 s[14:15], vcc
	s_cbranch_execz .LBB7_235
; %bb.234:                              ;   in Loop: Header=BB7_139 Depth=1
	s_bcnt1_i32_b64 s16, s[16:17]
	v_mov_b32_e32 v20, s16
	ds_add_rtn_u32 v20, v3, v20 offset:512
.LBB7_235:                              ;   in Loop: Header=BB7_139 Depth=1
	s_or_b64 exec, exec, s[14:15]
	s_waitcnt lgkmcnt(0)
	v_readfirstlane_b32 s14, v20
	v_add_u32_e32 v10, s14, v10
	v_cmp_lt_i32_e32 vcc, v10, v22
	s_mov_b64 s[14:15], 0
                                        ; implicit-def: $vgpr20
	s_and_saveexec_b64 s[16:17], vcc
; %bb.236:                              ;   in Loop: Header=BB7_139 Depth=1
	s_mov_b64 s[14:15], exec
	v_xad_u32 v20, v10, -1, v9
; %bb.237:                              ;   in Loop: Header=BB7_139 Depth=1
	s_or_b64 exec, exec, s[16:17]
	s_and_b64 s[14:15], s[14:15], exec
.LBB7_238:                              ;   in Loop: Header=BB7_139 Depth=1
	s_or_b64 exec, exec, s[12:13]
	s_and_b64 s[12:13], s[14:15], exec
	s_andn2_saveexec_b64 s[10:11], s[10:11]
	s_cbranch_execz .LBB7_145
.LBB7_239:                              ;   in Loop: Header=BB7_139 Depth=1
	s_mov_b64 s[16:17], exec
	v_mbcnt_lo_u32_b32 v10, s16, 0
	v_mbcnt_hi_u32_b32 v10, s17, v10
	v_cmp_eq_u32_e32 vcc, 0, v10
                                        ; implicit-def: $vgpr20
	s_and_saveexec_b64 s[14:15], vcc
	s_cbranch_execz .LBB7_241
; %bb.240:                              ;   in Loop: Header=BB7_139 Depth=1
	s_bcnt1_i32_b64 s16, s[16:17]
	v_mov_b32_e32 v20, s16
	ds_add_rtn_u32 v20, v3, v20 offset:384
.LBB7_241:                              ;   in Loop: Header=BB7_139 Depth=1
	s_or_b64 exec, exec, s[14:15]
	s_waitcnt lgkmcnt(0)
	v_readfirstlane_b32 s14, v20
	v_add_u32_e32 v20, s14, v10
	s_or_b64 s[12:13], s[12:13], exec
	s_or_b64 exec, exec, s[10:11]
	s_and_saveexec_b64 s[10:11], s[12:13]
	s_cbranch_execnz .LBB7_146
	s_branch .LBB7_147
.LBB7_242:                              ;   in Loop: Header=BB7_139 Depth=1
	v_cmp_eq_u32_e32 vcc, v11, v23
	s_mov_b64 s[14:15], 0
                                        ; implicit-def: $vgpr10
	s_and_saveexec_b64 s[12:13], vcc
	s_cbranch_execz .LBB7_248
; %bb.243:                              ;   in Loop: Header=BB7_139 Depth=1
	s_mov_b64 s[16:17], exec
	v_mbcnt_lo_u32_b32 v10, s16, 0
	v_mbcnt_hi_u32_b32 v10, s17, v10
	v_cmp_eq_u32_e32 vcc, 0, v10
                                        ; implicit-def: $vgpr11
	s_and_saveexec_b64 s[14:15], vcc
	s_cbranch_execz .LBB7_245
; %bb.244:                              ;   in Loop: Header=BB7_139 Depth=1
	s_bcnt1_i32_b64 s16, s[16:17]
	v_mov_b32_e32 v11, s16
	ds_add_rtn_u32 v11, v3, v11 offset:512
.LBB7_245:                              ;   in Loop: Header=BB7_139 Depth=1
	s_or_b64 exec, exec, s[14:15]
	s_waitcnt lgkmcnt(0)
	v_readfirstlane_b32 s14, v11
	v_add_u32_e32 v11, s14, v10
	v_cmp_lt_i32_e32 vcc, v11, v22
	s_mov_b64 s[14:15], 0
                                        ; implicit-def: $vgpr10
	s_and_saveexec_b64 s[16:17], vcc
; %bb.246:                              ;   in Loop: Header=BB7_139 Depth=1
	s_mov_b64 s[14:15], exec
	v_xad_u32 v10, v11, -1, v9
; %bb.247:                              ;   in Loop: Header=BB7_139 Depth=1
	s_or_b64 exec, exec, s[16:17]
	s_and_b64 s[14:15], s[14:15], exec
.LBB7_248:                              ;   in Loop: Header=BB7_139 Depth=1
	s_or_b64 exec, exec, s[12:13]
	s_and_b64 s[12:13], s[14:15], exec
	s_andn2_saveexec_b64 s[10:11], s[10:11]
	s_cbranch_execz .LBB7_149
.LBB7_249:                              ;   in Loop: Header=BB7_139 Depth=1
	s_mov_b64 s[16:17], exec
	v_mbcnt_lo_u32_b32 v10, s16, 0
	v_mbcnt_hi_u32_b32 v10, s17, v10
	v_cmp_eq_u32_e32 vcc, 0, v10
                                        ; implicit-def: $vgpr11
	s_and_saveexec_b64 s[14:15], vcc
	s_cbranch_execz .LBB7_251
; %bb.250:                              ;   in Loop: Header=BB7_139 Depth=1
	s_bcnt1_i32_b64 s16, s[16:17]
	v_mov_b32_e32 v11, s16
	ds_add_rtn_u32 v11, v3, v11 offset:384
.LBB7_251:                              ;   in Loop: Header=BB7_139 Depth=1
	s_or_b64 exec, exec, s[14:15]
	s_waitcnt lgkmcnt(0)
	v_readfirstlane_b32 s14, v11
	v_add_u32_e32 v10, s14, v10
	s_or_b64 s[12:13], s[12:13], exec
	s_or_b64 exec, exec, s[10:11]
	s_and_saveexec_b64 s[10:11], s[12:13]
	s_cbranch_execnz .LBB7_150
	s_branch .LBB7_151
.LBB7_252:                              ;   in Loop: Header=BB7_139 Depth=1
	v_cmp_eq_u32_e32 vcc, v11, v23
	s_mov_b64 s[14:15], 0
                                        ; implicit-def: $vgpr10
	s_and_saveexec_b64 s[12:13], vcc
	s_cbranch_execz .LBB7_258
; %bb.253:                              ;   in Loop: Header=BB7_139 Depth=1
	s_mov_b64 s[16:17], exec
	v_mbcnt_lo_u32_b32 v10, s16, 0
	v_mbcnt_hi_u32_b32 v10, s17, v10
	v_cmp_eq_u32_e32 vcc, 0, v10
                                        ; implicit-def: $vgpr11
	s_and_saveexec_b64 s[14:15], vcc
	s_cbranch_execz .LBB7_255
; %bb.254:                              ;   in Loop: Header=BB7_139 Depth=1
	s_bcnt1_i32_b64 s16, s[16:17]
	v_mov_b32_e32 v11, s16
	ds_add_rtn_u32 v11, v3, v11 offset:512
.LBB7_255:                              ;   in Loop: Header=BB7_139 Depth=1
	s_or_b64 exec, exec, s[14:15]
	s_waitcnt lgkmcnt(0)
	v_readfirstlane_b32 s14, v11
	v_add_u32_e32 v11, s14, v10
	v_cmp_lt_i32_e32 vcc, v11, v22
	s_mov_b64 s[14:15], 0
                                        ; implicit-def: $vgpr10
	s_and_saveexec_b64 s[16:17], vcc
; %bb.256:                              ;   in Loop: Header=BB7_139 Depth=1
	s_mov_b64 s[14:15], exec
	v_xad_u32 v10, v11, -1, v9
; %bb.257:                              ;   in Loop: Header=BB7_139 Depth=1
	s_or_b64 exec, exec, s[16:17]
	s_and_b64 s[14:15], s[14:15], exec
.LBB7_258:                              ;   in Loop: Header=BB7_139 Depth=1
	s_or_b64 exec, exec, s[12:13]
	s_and_b64 s[12:13], s[14:15], exec
	s_andn2_saveexec_b64 s[10:11], s[10:11]
	s_cbranch_execz .LBB7_153
.LBB7_259:                              ;   in Loop: Header=BB7_139 Depth=1
	s_mov_b64 s[16:17], exec
	v_mbcnt_lo_u32_b32 v10, s16, 0
	v_mbcnt_hi_u32_b32 v10, s17, v10
	v_cmp_eq_u32_e32 vcc, 0, v10
                                        ; implicit-def: $vgpr11
	s_and_saveexec_b64 s[14:15], vcc
	s_cbranch_execz .LBB7_261
; %bb.260:                              ;   in Loop: Header=BB7_139 Depth=1
	s_bcnt1_i32_b64 s16, s[16:17]
	v_mov_b32_e32 v11, s16
	ds_add_rtn_u32 v11, v3, v11 offset:384
.LBB7_261:                              ;   in Loop: Header=BB7_139 Depth=1
	s_or_b64 exec, exec, s[14:15]
	s_waitcnt lgkmcnt(0)
	v_readfirstlane_b32 s14, v11
	v_add_u32_e32 v10, s14, v10
	s_or_b64 s[12:13], s[12:13], exec
	s_or_b64 exec, exec, s[10:11]
	s_and_saveexec_b64 s[10:11], s[12:13]
	s_cbranch_execnz .LBB7_154
	s_branch .LBB7_155
.LBB7_262:                              ;   in Loop: Header=BB7_139 Depth=1
	v_cmp_eq_u32_e32 vcc, v14, v23
	s_mov_b64 s[14:15], 0
                                        ; implicit-def: $vgpr32
	s_and_saveexec_b64 s[12:13], vcc
	s_cbranch_execz .LBB7_268
; %bb.263:                              ;   in Loop: Header=BB7_139 Depth=1
	s_mov_b64 s[16:17], exec
	v_mbcnt_lo_u32_b32 v14, s16, 0
	v_mbcnt_hi_u32_b32 v14, s17, v14
	v_cmp_eq_u32_e32 vcc, 0, v14
                                        ; implicit-def: $vgpr32
	s_and_saveexec_b64 s[14:15], vcc
	s_cbranch_execz .LBB7_265
; %bb.264:                              ;   in Loop: Header=BB7_139 Depth=1
	s_bcnt1_i32_b64 s16, s[16:17]
	v_mov_b32_e32 v32, s16
	ds_add_rtn_u32 v32, v3, v32 offset:512
.LBB7_265:                              ;   in Loop: Header=BB7_139 Depth=1
	s_or_b64 exec, exec, s[14:15]
	s_waitcnt lgkmcnt(0)
	v_readfirstlane_b32 s14, v32
	v_add_u32_e32 v14, s14, v14
	v_cmp_lt_i32_e32 vcc, v14, v22
	s_mov_b64 s[14:15], 0
                                        ; implicit-def: $vgpr32
	s_and_saveexec_b64 s[16:17], vcc
; %bb.266:                              ;   in Loop: Header=BB7_139 Depth=1
	s_mov_b64 s[14:15], exec
	v_xad_u32 v32, v14, -1, v9
; %bb.267:                              ;   in Loop: Header=BB7_139 Depth=1
	s_or_b64 exec, exec, s[16:17]
	s_and_b64 s[14:15], s[14:15], exec
.LBB7_268:                              ;   in Loop: Header=BB7_139 Depth=1
	s_or_b64 exec, exec, s[12:13]
	s_and_b64 s[12:13], s[14:15], exec
	s_andn2_saveexec_b64 s[10:11], s[10:11]
	s_cbranch_execz .LBB7_171
.LBB7_269:                              ;   in Loop: Header=BB7_139 Depth=1
	s_mov_b64 s[16:17], exec
	v_mbcnt_lo_u32_b32 v14, s16, 0
	v_mbcnt_hi_u32_b32 v14, s17, v14
	v_cmp_eq_u32_e32 vcc, 0, v14
                                        ; implicit-def: $vgpr32
	s_and_saveexec_b64 s[14:15], vcc
	s_cbranch_execz .LBB7_271
; %bb.270:                              ;   in Loop: Header=BB7_139 Depth=1
	s_bcnt1_i32_b64 s16, s[16:17]
	v_mov_b32_e32 v32, s16
	ds_add_rtn_u32 v32, v3, v32 offset:384
.LBB7_271:                              ;   in Loop: Header=BB7_139 Depth=1
	s_or_b64 exec, exec, s[14:15]
	s_waitcnt lgkmcnt(0)
	v_readfirstlane_b32 s14, v32
	v_add_u32_e32 v32, s14, v14
	s_or_b64 s[12:13], s[12:13], exec
	s_or_b64 exec, exec, s[10:11]
	s_and_saveexec_b64 s[10:11], s[12:13]
	s_cbranch_execnz .LBB7_172
	s_branch .LBB7_173
.LBB7_272:                              ;   in Loop: Header=BB7_139 Depth=1
	v_cmp_eq_u32_e32 vcc, v15, v23
	s_mov_b64 s[14:15], 0
                                        ; implicit-def: $vgpr14
	s_and_saveexec_b64 s[12:13], vcc
	s_cbranch_execz .LBB7_278
; %bb.273:                              ;   in Loop: Header=BB7_139 Depth=1
	s_mov_b64 s[16:17], exec
	v_mbcnt_lo_u32_b32 v14, s16, 0
	v_mbcnt_hi_u32_b32 v14, s17, v14
	v_cmp_eq_u32_e32 vcc, 0, v14
                                        ; implicit-def: $vgpr15
	s_and_saveexec_b64 s[14:15], vcc
	s_cbranch_execz .LBB7_275
; %bb.274:                              ;   in Loop: Header=BB7_139 Depth=1
	s_bcnt1_i32_b64 s16, s[16:17]
	v_mov_b32_e32 v15, s16
	ds_add_rtn_u32 v15, v3, v15 offset:512
.LBB7_275:                              ;   in Loop: Header=BB7_139 Depth=1
	s_or_b64 exec, exec, s[14:15]
	s_waitcnt lgkmcnt(0)
	v_readfirstlane_b32 s14, v15
	v_add_u32_e32 v15, s14, v14
	v_cmp_lt_i32_e32 vcc, v15, v22
	s_mov_b64 s[14:15], 0
                                        ; implicit-def: $vgpr14
	s_and_saveexec_b64 s[16:17], vcc
; %bb.276:                              ;   in Loop: Header=BB7_139 Depth=1
	s_mov_b64 s[14:15], exec
	v_xad_u32 v14, v15, -1, v9
; %bb.277:                              ;   in Loop: Header=BB7_139 Depth=1
	s_or_b64 exec, exec, s[16:17]
	s_and_b64 s[14:15], s[14:15], exec
.LBB7_278:                              ;   in Loop: Header=BB7_139 Depth=1
	s_or_b64 exec, exec, s[12:13]
	s_and_b64 s[12:13], s[14:15], exec
	s_andn2_saveexec_b64 s[10:11], s[10:11]
	s_cbranch_execz .LBB7_175
.LBB7_279:                              ;   in Loop: Header=BB7_139 Depth=1
	s_mov_b64 s[16:17], exec
	v_mbcnt_lo_u32_b32 v14, s16, 0
	v_mbcnt_hi_u32_b32 v14, s17, v14
	v_cmp_eq_u32_e32 vcc, 0, v14
                                        ; implicit-def: $vgpr15
	s_and_saveexec_b64 s[14:15], vcc
	s_cbranch_execz .LBB7_281
; %bb.280:                              ;   in Loop: Header=BB7_139 Depth=1
	s_bcnt1_i32_b64 s16, s[16:17]
	v_mov_b32_e32 v15, s16
	ds_add_rtn_u32 v15, v3, v15 offset:384
.LBB7_281:                              ;   in Loop: Header=BB7_139 Depth=1
	s_or_b64 exec, exec, s[14:15]
	s_waitcnt lgkmcnt(0)
	v_readfirstlane_b32 s14, v15
	v_add_u32_e32 v14, s14, v14
	s_or_b64 s[12:13], s[12:13], exec
	s_or_b64 exec, exec, s[10:11]
	s_and_saveexec_b64 s[10:11], s[12:13]
	s_cbranch_execnz .LBB7_176
	s_branch .LBB7_177
.LBB7_282:                              ;   in Loop: Header=BB7_139 Depth=1
	v_cmp_eq_u32_e32 vcc, v15, v23
	s_mov_b64 s[14:15], 0
                                        ; implicit-def: $vgpr14
	s_and_saveexec_b64 s[12:13], vcc
	s_cbranch_execz .LBB7_288
; %bb.283:                              ;   in Loop: Header=BB7_139 Depth=1
	s_mov_b64 s[16:17], exec
	v_mbcnt_lo_u32_b32 v14, s16, 0
	v_mbcnt_hi_u32_b32 v14, s17, v14
	v_cmp_eq_u32_e32 vcc, 0, v14
                                        ; implicit-def: $vgpr15
	s_and_saveexec_b64 s[14:15], vcc
	s_cbranch_execz .LBB7_285
; %bb.284:                              ;   in Loop: Header=BB7_139 Depth=1
	s_bcnt1_i32_b64 s16, s[16:17]
	v_mov_b32_e32 v15, s16
	ds_add_rtn_u32 v15, v3, v15 offset:512
.LBB7_285:                              ;   in Loop: Header=BB7_139 Depth=1
	s_or_b64 exec, exec, s[14:15]
	s_waitcnt lgkmcnt(0)
	v_readfirstlane_b32 s14, v15
	v_add_u32_e32 v15, s14, v14
	v_cmp_lt_i32_e32 vcc, v15, v22
	s_mov_b64 s[14:15], 0
                                        ; implicit-def: $vgpr14
	s_and_saveexec_b64 s[16:17], vcc
; %bb.286:                              ;   in Loop: Header=BB7_139 Depth=1
	s_mov_b64 s[14:15], exec
	v_xad_u32 v14, v15, -1, v9
; %bb.287:                              ;   in Loop: Header=BB7_139 Depth=1
	s_or_b64 exec, exec, s[16:17]
	s_and_b64 s[14:15], s[14:15], exec
.LBB7_288:                              ;   in Loop: Header=BB7_139 Depth=1
	s_or_b64 exec, exec, s[12:13]
	s_and_b64 s[12:13], s[14:15], exec
	s_andn2_saveexec_b64 s[10:11], s[10:11]
	s_cbranch_execz .LBB7_179
.LBB7_289:                              ;   in Loop: Header=BB7_139 Depth=1
	s_mov_b64 s[16:17], exec
	v_mbcnt_lo_u32_b32 v14, s16, 0
	v_mbcnt_hi_u32_b32 v14, s17, v14
	v_cmp_eq_u32_e32 vcc, 0, v14
                                        ; implicit-def: $vgpr15
	s_and_saveexec_b64 s[14:15], vcc
	s_cbranch_execz .LBB7_291
; %bb.290:                              ;   in Loop: Header=BB7_139 Depth=1
	s_bcnt1_i32_b64 s16, s[16:17]
	v_mov_b32_e32 v15, s16
	ds_add_rtn_u32 v15, v3, v15 offset:384
.LBB7_291:                              ;   in Loop: Header=BB7_139 Depth=1
	s_or_b64 exec, exec, s[14:15]
	s_waitcnt lgkmcnt(0)
	v_readfirstlane_b32 s14, v15
	v_add_u32_e32 v14, s14, v14
	s_or_b64 s[12:13], s[12:13], exec
	s_or_b64 exec, exec, s[10:11]
	s_and_saveexec_b64 s[10:11], s[12:13]
	s_cbranch_execnz .LBB7_180
	s_branch .LBB7_181
.LBB7_292:                              ;   in Loop: Header=BB7_139 Depth=1
	v_cmp_eq_u32_e32 vcc, v15, v23
	s_mov_b64 s[14:15], 0
                                        ; implicit-def: $vgpr14
	s_and_saveexec_b64 s[12:13], vcc
	s_cbranch_execz .LBB7_298
; %bb.293:                              ;   in Loop: Header=BB7_139 Depth=1
	s_mov_b64 s[16:17], exec
	v_mbcnt_lo_u32_b32 v14, s16, 0
	v_mbcnt_hi_u32_b32 v14, s17, v14
	v_cmp_eq_u32_e32 vcc, 0, v14
                                        ; implicit-def: $vgpr15
	s_and_saveexec_b64 s[14:15], vcc
	s_cbranch_execz .LBB7_295
; %bb.294:                              ;   in Loop: Header=BB7_139 Depth=1
	s_bcnt1_i32_b64 s16, s[16:17]
	v_mov_b32_e32 v15, s16
	ds_add_rtn_u32 v15, v3, v15 offset:512
.LBB7_295:                              ;   in Loop: Header=BB7_139 Depth=1
	s_or_b64 exec, exec, s[14:15]
	s_waitcnt lgkmcnt(0)
	v_readfirstlane_b32 s14, v15
	v_add_u32_e32 v15, s14, v14
	v_cmp_lt_i32_e32 vcc, v15, v22
	s_mov_b64 s[14:15], 0
                                        ; implicit-def: $vgpr14
	s_and_saveexec_b64 s[16:17], vcc
; %bb.296:                              ;   in Loop: Header=BB7_139 Depth=1
	s_mov_b64 s[14:15], exec
	v_xad_u32 v14, v15, -1, v9
; %bb.297:                              ;   in Loop: Header=BB7_139 Depth=1
	s_or_b64 exec, exec, s[16:17]
	s_and_b64 s[14:15], s[14:15], exec
.LBB7_298:                              ;   in Loop: Header=BB7_139 Depth=1
	s_or_b64 exec, exec, s[12:13]
	s_and_b64 s[12:13], s[14:15], exec
	s_andn2_saveexec_b64 s[10:11], s[10:11]
	s_cbranch_execz .LBB7_197
.LBB7_299:                              ;   in Loop: Header=BB7_139 Depth=1
	s_mov_b64 s[16:17], exec
	v_mbcnt_lo_u32_b32 v14, s16, 0
	v_mbcnt_hi_u32_b32 v14, s17, v14
	v_cmp_eq_u32_e32 vcc, 0, v14
                                        ; implicit-def: $vgpr15
	s_and_saveexec_b64 s[14:15], vcc
	s_cbranch_execz .LBB7_301
; %bb.300:                              ;   in Loop: Header=BB7_139 Depth=1
	s_bcnt1_i32_b64 s16, s[16:17]
	v_mov_b32_e32 v15, s16
	ds_add_rtn_u32 v15, v3, v15 offset:384
.LBB7_301:                              ;   in Loop: Header=BB7_139 Depth=1
	s_or_b64 exec, exec, s[14:15]
	s_waitcnt lgkmcnt(0)
	v_readfirstlane_b32 s14, v15
	v_add_u32_e32 v14, s14, v14
	s_or_b64 s[12:13], s[12:13], exec
	s_or_b64 exec, exec, s[10:11]
	s_and_saveexec_b64 s[10:11], s[12:13]
	s_cbranch_execnz .LBB7_198
	s_branch .LBB7_199
.LBB7_302:                              ;   in Loop: Header=BB7_139 Depth=1
	v_cmp_eq_u32_e32 vcc, v15, v23
	s_mov_b64 s[14:15], 0
                                        ; implicit-def: $vgpr14
	s_and_saveexec_b64 s[12:13], vcc
	s_cbranch_execz .LBB7_308
; %bb.303:                              ;   in Loop: Header=BB7_139 Depth=1
	s_mov_b64 s[16:17], exec
	v_mbcnt_lo_u32_b32 v14, s16, 0
	v_mbcnt_hi_u32_b32 v14, s17, v14
	v_cmp_eq_u32_e32 vcc, 0, v14
                                        ; implicit-def: $vgpr15
	s_and_saveexec_b64 s[14:15], vcc
	s_cbranch_execz .LBB7_305
; %bb.304:                              ;   in Loop: Header=BB7_139 Depth=1
	s_bcnt1_i32_b64 s16, s[16:17]
	v_mov_b32_e32 v15, s16
	ds_add_rtn_u32 v15, v3, v15 offset:512
.LBB7_305:                              ;   in Loop: Header=BB7_139 Depth=1
	s_or_b64 exec, exec, s[14:15]
	s_waitcnt lgkmcnt(0)
	v_readfirstlane_b32 s14, v15
	v_add_u32_e32 v15, s14, v14
	v_cmp_lt_i32_e32 vcc, v15, v22
	s_mov_b64 s[14:15], 0
                                        ; implicit-def: $vgpr14
	s_and_saveexec_b64 s[16:17], vcc
; %bb.306:                              ;   in Loop: Header=BB7_139 Depth=1
	s_mov_b64 s[14:15], exec
	v_xad_u32 v14, v15, -1, v9
; %bb.307:                              ;   in Loop: Header=BB7_139 Depth=1
	s_or_b64 exec, exec, s[16:17]
	s_and_b64 s[14:15], s[14:15], exec
.LBB7_308:                              ;   in Loop: Header=BB7_139 Depth=1
	s_or_b64 exec, exec, s[12:13]
	s_and_b64 s[12:13], s[14:15], exec
	s_andn2_saveexec_b64 s[10:11], s[10:11]
	s_cbranch_execz .LBB7_201
.LBB7_309:                              ;   in Loop: Header=BB7_139 Depth=1
	s_mov_b64 s[16:17], exec
	v_mbcnt_lo_u32_b32 v14, s16, 0
	v_mbcnt_hi_u32_b32 v14, s17, v14
	v_cmp_eq_u32_e32 vcc, 0, v14
                                        ; implicit-def: $vgpr15
	s_and_saveexec_b64 s[14:15], vcc
	s_cbranch_execz .LBB7_311
; %bb.310:                              ;   in Loop: Header=BB7_139 Depth=1
	s_bcnt1_i32_b64 s16, s[16:17]
	v_mov_b32_e32 v15, s16
	ds_add_rtn_u32 v15, v3, v15 offset:384
.LBB7_311:                              ;   in Loop: Header=BB7_139 Depth=1
	s_or_b64 exec, exec, s[14:15]
	s_waitcnt lgkmcnt(0)
	v_readfirstlane_b32 s14, v15
	v_add_u32_e32 v14, s14, v14
	s_or_b64 s[12:13], s[12:13], exec
	s_or_b64 exec, exec, s[10:11]
	s_and_saveexec_b64 s[10:11], s[12:13]
	s_cbranch_execnz .LBB7_202
	s_branch .LBB7_203
.LBB7_312:                              ;   in Loop: Header=BB7_139 Depth=1
	v_cmp_eq_u32_e32 vcc, v15, v23
	s_mov_b64 s[14:15], 0
                                        ; implicit-def: $vgpr14
	s_and_saveexec_b64 s[12:13], vcc
	s_cbranch_execz .LBB7_318
; %bb.313:                              ;   in Loop: Header=BB7_139 Depth=1
	s_mov_b64 s[16:17], exec
	v_mbcnt_lo_u32_b32 v14, s16, 0
	v_mbcnt_hi_u32_b32 v14, s17, v14
	v_cmp_eq_u32_e32 vcc, 0, v14
                                        ; implicit-def: $vgpr15
	s_and_saveexec_b64 s[14:15], vcc
	s_cbranch_execz .LBB7_315
; %bb.314:                              ;   in Loop: Header=BB7_139 Depth=1
	s_bcnt1_i32_b64 s16, s[16:17]
	v_mov_b32_e32 v15, s16
	ds_add_rtn_u32 v15, v3, v15 offset:512
.LBB7_315:                              ;   in Loop: Header=BB7_139 Depth=1
	s_or_b64 exec, exec, s[14:15]
	s_waitcnt lgkmcnt(0)
	v_readfirstlane_b32 s14, v15
	v_add_u32_e32 v15, s14, v14
	v_cmp_lt_i32_e32 vcc, v15, v22
	s_mov_b64 s[14:15], 0
                                        ; implicit-def: $vgpr14
	s_and_saveexec_b64 s[16:17], vcc
; %bb.316:                              ;   in Loop: Header=BB7_139 Depth=1
	s_mov_b64 s[14:15], exec
	v_xad_u32 v14, v15, -1, v9
; %bb.317:                              ;   in Loop: Header=BB7_139 Depth=1
	s_or_b64 exec, exec, s[16:17]
	s_and_b64 s[14:15], s[14:15], exec
.LBB7_318:                              ;   in Loop: Header=BB7_139 Depth=1
	s_or_b64 exec, exec, s[12:13]
	s_and_b64 s[12:13], s[14:15], exec
	s_andn2_saveexec_b64 s[10:11], s[10:11]
	s_cbranch_execz .LBB7_205
.LBB7_319:                              ;   in Loop: Header=BB7_139 Depth=1
	s_mov_b64 s[16:17], exec
	v_mbcnt_lo_u32_b32 v14, s16, 0
	v_mbcnt_hi_u32_b32 v14, s17, v14
	v_cmp_eq_u32_e32 vcc, 0, v14
                                        ; implicit-def: $vgpr15
	s_and_saveexec_b64 s[14:15], vcc
	s_cbranch_execz .LBB7_321
; %bb.320:                              ;   in Loop: Header=BB7_139 Depth=1
	s_bcnt1_i32_b64 s16, s[16:17]
	v_mov_b32_e32 v15, s16
	ds_add_rtn_u32 v15, v3, v15 offset:384
.LBB7_321:                              ;   in Loop: Header=BB7_139 Depth=1
	s_or_b64 exec, exec, s[14:15]
	s_waitcnt lgkmcnt(0)
	v_readfirstlane_b32 s14, v15
	v_add_u32_e32 v14, s14, v14
	s_or_b64 s[12:13], s[12:13], exec
	s_or_b64 exec, exec, s[10:11]
	s_and_saveexec_b64 s[10:11], s[12:13]
	s_cbranch_execnz .LBB7_206
	s_branch .LBB7_207
.LBB7_322:                              ;   in Loop: Header=BB7_139 Depth=1
	v_cmp_eq_u32_e32 vcc, v15, v23
	s_mov_b64 s[14:15], 0
                                        ; implicit-def: $vgpr14
	s_and_saveexec_b64 s[12:13], vcc
	s_cbranch_execz .LBB7_328
; %bb.323:                              ;   in Loop: Header=BB7_139 Depth=1
	s_mov_b64 s[16:17], exec
	v_mbcnt_lo_u32_b32 v14, s16, 0
	v_mbcnt_hi_u32_b32 v14, s17, v14
	v_cmp_eq_u32_e32 vcc, 0, v14
                                        ; implicit-def: $vgpr15
	s_and_saveexec_b64 s[14:15], vcc
	s_cbranch_execz .LBB7_325
; %bb.324:                              ;   in Loop: Header=BB7_139 Depth=1
	s_bcnt1_i32_b64 s16, s[16:17]
	v_mov_b32_e32 v15, s16
	ds_add_rtn_u32 v15, v3, v15 offset:512
.LBB7_325:                              ;   in Loop: Header=BB7_139 Depth=1
	s_or_b64 exec, exec, s[14:15]
	s_waitcnt lgkmcnt(0)
	v_readfirstlane_b32 s14, v15
	v_add_u32_e32 v15, s14, v14
	v_cmp_lt_i32_e32 vcc, v15, v22
	s_mov_b64 s[14:15], 0
                                        ; implicit-def: $vgpr14
	s_and_saveexec_b64 s[16:17], vcc
	s_xor_b64 s[16:17], exec, s[16:17]
; %bb.326:                              ;   in Loop: Header=BB7_139 Depth=1
	s_mov_b64 s[14:15], exec
	v_xad_u32 v14, v15, -1, v9
; %bb.327:                              ;   in Loop: Header=BB7_139 Depth=1
	s_or_b64 exec, exec, s[16:17]
	s_and_b64 s[14:15], s[14:15], exec
.LBB7_328:                              ;   in Loop: Header=BB7_139 Depth=1
	s_or_b64 exec, exec, s[12:13]
	s_and_b64 s[12:13], s[14:15], exec
	s_andn2_saveexec_b64 s[10:11], s[10:11]
	s_cbranch_execz .LBB7_209
.LBB7_329:                              ;   in Loop: Header=BB7_139 Depth=1
	s_mov_b64 s[16:17], exec
	v_mbcnt_lo_u32_b32 v14, s16, 0
	v_mbcnt_hi_u32_b32 v14, s17, v14
	v_cmp_eq_u32_e32 vcc, 0, v14
                                        ; implicit-def: $vgpr15
	s_and_saveexec_b64 s[14:15], vcc
	s_cbranch_execz .LBB7_331
; %bb.330:                              ;   in Loop: Header=BB7_139 Depth=1
	s_bcnt1_i32_b64 s16, s[16:17]
	v_mov_b32_e32 v15, s16
	ds_add_rtn_u32 v15, v3, v15 offset:384
.LBB7_331:                              ;   in Loop: Header=BB7_139 Depth=1
	s_or_b64 exec, exec, s[14:15]
	s_waitcnt lgkmcnt(0)
	v_readfirstlane_b32 s14, v15
	v_add_u32_e32 v14, s14, v14
	s_or_b64 s[12:13], s[12:13], exec
	s_or_b64 exec, exec, s[10:11]
	v_lshl_add_u32 v16, v30, 2, v24
	s_and_saveexec_b64 s[10:11], s[12:13]
	s_cbranch_execnz .LBB7_210
	s_branch .LBB7_211
.LBB7_332:                              ;   in Loop: Header=BB7_139 Depth=1
	v_cmp_eq_u32_e32 vcc, v10, v23
	s_mov_b64 s[14:15], 0
                                        ; implicit-def: $vgpr14
	s_and_saveexec_b64 s[12:13], vcc
	s_cbranch_execz .LBB7_338
; %bb.333:                              ;   in Loop: Header=BB7_139 Depth=1
	s_mov_b64 s[16:17], exec
	v_mbcnt_lo_u32_b32 v10, s16, 0
	v_mbcnt_hi_u32_b32 v10, s17, v10
	v_cmp_eq_u32_e32 vcc, 0, v10
                                        ; implicit-def: $vgpr14
	s_and_saveexec_b64 s[14:15], vcc
	s_cbranch_execz .LBB7_335
; %bb.334:                              ;   in Loop: Header=BB7_139 Depth=1
	s_bcnt1_i32_b64 s16, s[16:17]
	v_mov_b32_e32 v14, s16
	ds_add_rtn_u32 v14, v3, v14 offset:512
.LBB7_335:                              ;   in Loop: Header=BB7_139 Depth=1
	s_or_b64 exec, exec, s[14:15]
	s_waitcnt lgkmcnt(0)
	v_readfirstlane_b32 s14, v14
	v_add_u32_e32 v10, s14, v10
	v_cmp_lt_i32_e32 vcc, v10, v22
	s_mov_b64 s[14:15], 0
                                        ; implicit-def: $vgpr14
	s_and_saveexec_b64 s[16:17], vcc
; %bb.336:                              ;   in Loop: Header=BB7_139 Depth=1
	s_mov_b64 s[14:15], exec
	v_xad_u32 v14, v10, -1, v9
; %bb.337:                              ;   in Loop: Header=BB7_139 Depth=1
	s_or_b64 exec, exec, s[16:17]
	s_and_b64 s[14:15], s[14:15], exec
.LBB7_338:                              ;   in Loop: Header=BB7_139 Depth=1
	s_or_b64 exec, exec, s[12:13]
	s_and_b64 s[12:13], s[14:15], exec
	s_andn2_saveexec_b64 s[10:11], s[10:11]
	s_cbranch_execz .LBB7_213
.LBB7_339:                              ;   in Loop: Header=BB7_139 Depth=1
	s_mov_b64 s[16:17], exec
	v_mbcnt_lo_u32_b32 v10, s16, 0
	v_mbcnt_hi_u32_b32 v10, s17, v10
	v_cmp_eq_u32_e32 vcc, 0, v10
                                        ; implicit-def: $vgpr14
	s_and_saveexec_b64 s[14:15], vcc
	s_cbranch_execz .LBB7_341
; %bb.340:                              ;   in Loop: Header=BB7_139 Depth=1
	s_bcnt1_i32_b64 s16, s[16:17]
	v_mov_b32_e32 v14, s16
	ds_add_rtn_u32 v14, v3, v14 offset:384
.LBB7_341:                              ;   in Loop: Header=BB7_139 Depth=1
	s_or_b64 exec, exec, s[14:15]
	s_waitcnt lgkmcnt(0)
	v_readfirstlane_b32 s14, v14
	v_add_u32_e32 v14, s14, v10
	s_or_b64 s[12:13], s[12:13], exec
	s_or_b64 exec, exec, s[10:11]
	s_and_saveexec_b64 s[10:11], s[12:13]
	s_cbranch_execnz .LBB7_214
	s_branch .LBB7_215
.LBB7_342:                              ;   in Loop: Header=BB7_139 Depth=1
	v_cmp_eq_u32_e32 vcc, v11, v23
	s_mov_b64 s[14:15], 0
                                        ; implicit-def: $vgpr10
	s_and_saveexec_b64 s[12:13], vcc
	s_cbranch_execz .LBB7_348
; %bb.343:                              ;   in Loop: Header=BB7_139 Depth=1
	s_mov_b64 s[16:17], exec
	v_mbcnt_lo_u32_b32 v10, s16, 0
	v_mbcnt_hi_u32_b32 v10, s17, v10
	v_cmp_eq_u32_e32 vcc, 0, v10
                                        ; implicit-def: $vgpr11
	s_and_saveexec_b64 s[14:15], vcc
	s_cbranch_execz .LBB7_345
; %bb.344:                              ;   in Loop: Header=BB7_139 Depth=1
	s_bcnt1_i32_b64 s16, s[16:17]
	v_mov_b32_e32 v11, s16
	ds_add_rtn_u32 v11, v3, v11 offset:512
.LBB7_345:                              ;   in Loop: Header=BB7_139 Depth=1
	s_or_b64 exec, exec, s[14:15]
	s_waitcnt lgkmcnt(0)
	v_readfirstlane_b32 s14, v11
	v_add_u32_e32 v11, s14, v10
	v_cmp_lt_i32_e32 vcc, v11, v22
	s_mov_b64 s[14:15], 0
                                        ; implicit-def: $vgpr10
	s_and_saveexec_b64 s[16:17], vcc
; %bb.346:                              ;   in Loop: Header=BB7_139 Depth=1
	s_mov_b64 s[14:15], exec
	v_xad_u32 v10, v11, -1, v9
; %bb.347:                              ;   in Loop: Header=BB7_139 Depth=1
	s_or_b64 exec, exec, s[16:17]
	s_and_b64 s[14:15], s[14:15], exec
.LBB7_348:                              ;   in Loop: Header=BB7_139 Depth=1
	s_or_b64 exec, exec, s[12:13]
	s_and_b64 s[12:13], s[14:15], exec
	s_andn2_saveexec_b64 s[10:11], s[10:11]
	s_cbranch_execz .LBB7_217
.LBB7_349:                              ;   in Loop: Header=BB7_139 Depth=1
	s_mov_b64 s[16:17], exec
	v_mbcnt_lo_u32_b32 v10, s16, 0
	v_mbcnt_hi_u32_b32 v10, s17, v10
	v_cmp_eq_u32_e32 vcc, 0, v10
                                        ; implicit-def: $vgpr11
	s_and_saveexec_b64 s[14:15], vcc
	s_cbranch_execz .LBB7_351
; %bb.350:                              ;   in Loop: Header=BB7_139 Depth=1
	s_bcnt1_i32_b64 s16, s[16:17]
	v_mov_b32_e32 v11, s16
	ds_add_rtn_u32 v11, v3, v11 offset:384
.LBB7_351:                              ;   in Loop: Header=BB7_139 Depth=1
	s_or_b64 exec, exec, s[14:15]
	s_waitcnt lgkmcnt(0)
	v_readfirstlane_b32 s14, v11
	v_add_u32_e32 v10, s14, v10
	s_or_b64 s[12:13], s[12:13], exec
	s_or_b64 exec, exec, s[10:11]
	s_and_saveexec_b64 s[10:11], s[12:13]
	s_cbranch_execnz .LBB7_218
	s_branch .LBB7_219
.LBB7_352:                              ;   in Loop: Header=BB7_139 Depth=1
	v_cmp_eq_u32_e32 vcc, v11, v23
	s_mov_b64 s[14:15], 0
                                        ; implicit-def: $vgpr10
	s_and_saveexec_b64 s[12:13], vcc
	s_cbranch_execz .LBB7_358
; %bb.353:                              ;   in Loop: Header=BB7_139 Depth=1
	s_mov_b64 s[16:17], exec
	v_mbcnt_lo_u32_b32 v10, s16, 0
	v_mbcnt_hi_u32_b32 v10, s17, v10
	v_cmp_eq_u32_e32 vcc, 0, v10
                                        ; implicit-def: $vgpr11
	s_and_saveexec_b64 s[14:15], vcc
	s_cbranch_execz .LBB7_355
; %bb.354:                              ;   in Loop: Header=BB7_139 Depth=1
	s_bcnt1_i32_b64 s16, s[16:17]
	v_mov_b32_e32 v11, s16
	ds_add_rtn_u32 v11, v3, v11 offset:512
.LBB7_355:                              ;   in Loop: Header=BB7_139 Depth=1
	s_or_b64 exec, exec, s[14:15]
	s_waitcnt lgkmcnt(0)
	v_readfirstlane_b32 s14, v11
	v_add_u32_e32 v11, s14, v10
	v_cmp_lt_i32_e32 vcc, v11, v22
	s_mov_b64 s[14:15], 0
                                        ; implicit-def: $vgpr10
	s_and_saveexec_b64 s[16:17], vcc
; %bb.356:                              ;   in Loop: Header=BB7_139 Depth=1
	s_mov_b64 s[14:15], exec
	v_xad_u32 v10, v11, -1, v9
; %bb.357:                              ;   in Loop: Header=BB7_139 Depth=1
	s_or_b64 exec, exec, s[16:17]
	s_and_b64 s[14:15], s[14:15], exec
.LBB7_358:                              ;   in Loop: Header=BB7_139 Depth=1
	s_or_b64 exec, exec, s[12:13]
	s_and_b64 s[12:13], s[14:15], exec
	s_andn2_saveexec_b64 s[10:11], s[10:11]
	s_cbranch_execz .LBB7_221
.LBB7_359:                              ;   in Loop: Header=BB7_139 Depth=1
	s_mov_b64 s[16:17], exec
	v_mbcnt_lo_u32_b32 v10, s16, 0
	v_mbcnt_hi_u32_b32 v10, s17, v10
	v_cmp_eq_u32_e32 vcc, 0, v10
                                        ; implicit-def: $vgpr11
	s_and_saveexec_b64 s[14:15], vcc
	s_cbranch_execz .LBB7_361
; %bb.360:                              ;   in Loop: Header=BB7_139 Depth=1
	s_bcnt1_i32_b64 s16, s[16:17]
	v_mov_b32_e32 v11, s16
	ds_add_rtn_u32 v11, v3, v11 offset:384
.LBB7_361:                              ;   in Loop: Header=BB7_139 Depth=1
	s_or_b64 exec, exec, s[14:15]
	s_waitcnt lgkmcnt(0)
	v_readfirstlane_b32 s14, v11
	v_add_u32_e32 v10, s14, v10
	s_or_b64 s[12:13], s[12:13], exec
	s_or_b64 exec, exec, s[10:11]
	s_and_saveexec_b64 s[10:11], s[12:13]
	s_cbranch_execz .LBB7_138
.LBB7_362:                              ;   in Loop: Header=BB7_139 Depth=1
	v_ashrrev_i32_e32 v11, 31, v10
	v_lshlrev_b64 v[10:11], 2, v[10:11]
	v_add_co_u32_e32 v14, vcc, v4, v10
	v_addc_co_u32_e32 v15, vcc, v5, v11, vcc
	v_add_co_u32_e32 v10, vcc, v6, v10
	v_add_u32_e32 v12, 3, v16
	v_addc_co_u32_e32 v11, vcc, v7, v11, vcc
	flat_store_dword v[14:15], v13
	flat_store_dword v[10:11], v12
	s_branch .LBB7_138
.LBB7_363:
	s_or_b64 exec, exec, s[6:7]
.LBB7_364:
	s_or_b64 exec, exec, s[8:9]
	v_cmp_lt_i32_e32 vcc, v28, v26
	s_and_saveexec_b64 s[6:7], vcc
	s_cbranch_execz .LBB7_423
; %bb.365:
	v_lshl_add_u32 v3, v28, 2, v24
	s_mov_b64 s[8:9], 0
	v_bfrev_b32_e32 v16, -2
	v_mov_b32_e32 v17, 0
	s_branch .LBB7_367
.LBB7_366:                              ;   in Loop: Header=BB7_367 Depth=1
	s_or_b64 exec, exec, s[10:11]
	v_add_u32_e32 v28, v28, v36
	v_cmp_ge_i32_e32 vcc, v28, v26
	s_or_b64 s[8:9], vcc, s[8:9]
	v_add_u32_e32 v3, v3, v37
	s_andn2_b64 exec, exec, s[8:9]
	s_cbranch_execz .LBB7_423
.LBB7_367:                              ; =>This Inner Loop Header: Depth=1
	v_ashrrev_i32_e32 v29, 31, v28
	v_lshlrev_b64 v[10:11], 4, v[28:29]
	v_add_co_u32_e32 v10, vcc, v25, v10
	v_addc_co_u32_e32 v11, vcc, v35, v11, vcc
	flat_load_dwordx4 v[10:13], v[10:11]
	s_mov_b64 s[12:13], 0
	s_waitcnt vmcnt(0) lgkmcnt(0)
	v_cmp_gt_i32_e32 vcc, 0, v10
	v_cndmask_b32_e64 v14, v16, 0, vcc
	v_xor_b32_e32 v14, v14, v10
	v_and_b32_e32 v15, v14, v34
	v_cmp_ge_u32_e32 vcc, v15, v23
                                        ; implicit-def: $vgpr14
	s_and_saveexec_b64 s[10:11], vcc
	s_xor_b64 s[10:11], exec, s[10:11]
	s_cbranch_execnz .LBB7_382
; %bb.368:                              ;   in Loop: Header=BB7_367 Depth=1
	s_andn2_saveexec_b64 s[10:11], s[10:11]
	s_cbranch_execnz .LBB7_389
.LBB7_369:                              ;   in Loop: Header=BB7_367 Depth=1
	s_or_b64 exec, exec, s[10:11]
	s_and_saveexec_b64 s[10:11], s[12:13]
	s_cbranch_execz .LBB7_371
.LBB7_370:                              ;   in Loop: Header=BB7_367 Depth=1
	v_ashrrev_i32_e32 v15, 31, v14
	v_lshlrev_b64 v[14:15], 2, v[14:15]
	v_add_co_u32_e32 v18, vcc, v4, v14
	v_addc_co_u32_e32 v19, vcc, v5, v15, vcc
	v_add_co_u32_e32 v14, vcc, v6, v14
	v_addc_co_u32_e32 v15, vcc, v7, v15, vcc
	flat_store_dword v[18:19], v10
	flat_store_dword v[14:15], v3
.LBB7_371:                              ;   in Loop: Header=BB7_367 Depth=1
	s_or_b64 exec, exec, s[10:11]
	v_cmp_gt_i32_e32 vcc, 0, v11
	v_cndmask_b32_e64 v10, v16, 0, vcc
	v_xor_b32_e32 v10, v10, v11
	v_and_b32_e32 v10, v10, v34
	v_cmp_ge_u32_e32 vcc, v10, v23
	s_mov_b64 s[12:13], 0
                                        ; implicit-def: $vgpr14
	s_and_saveexec_b64 s[10:11], vcc
	s_xor_b64 s[10:11], exec, s[10:11]
	s_cbranch_execnz .LBB7_392
; %bb.372:                              ;   in Loop: Header=BB7_367 Depth=1
	s_andn2_saveexec_b64 s[10:11], s[10:11]
	s_cbranch_execnz .LBB7_399
.LBB7_373:                              ;   in Loop: Header=BB7_367 Depth=1
	s_or_b64 exec, exec, s[10:11]
	s_and_saveexec_b64 s[10:11], s[12:13]
	s_cbranch_execz .LBB7_375
.LBB7_374:                              ;   in Loop: Header=BB7_367 Depth=1
	v_ashrrev_i32_e32 v15, 31, v14
	v_lshlrev_b64 v[14:15], 2, v[14:15]
	v_add_co_u32_e32 v18, vcc, v4, v14
	v_addc_co_u32_e32 v19, vcc, v5, v15, vcc
	v_add_co_u32_e32 v10, vcc, v6, v14
	v_add_u32_e32 v20, 1, v3
	flat_store_dword v[18:19], v11
	v_addc_co_u32_e32 v11, vcc, v7, v15, vcc
	flat_store_dword v[10:11], v20
.LBB7_375:                              ;   in Loop: Header=BB7_367 Depth=1
	s_or_b64 exec, exec, s[10:11]
	v_cmp_gt_i32_e32 vcc, 0, v12
	v_cndmask_b32_e64 v10, v16, 0, vcc
	v_xor_b32_e32 v10, v10, v12
	v_and_b32_e32 v11, v10, v34
	v_cmp_ge_u32_e32 vcc, v11, v23
	s_mov_b64 s[12:13], 0
                                        ; implicit-def: $vgpr10
	s_and_saveexec_b64 s[10:11], vcc
	s_xor_b64 s[10:11], exec, s[10:11]
	s_cbranch_execnz .LBB7_402
; %bb.376:                              ;   in Loop: Header=BB7_367 Depth=1
	s_andn2_saveexec_b64 s[10:11], s[10:11]
	s_cbranch_execnz .LBB7_409
.LBB7_377:                              ;   in Loop: Header=BB7_367 Depth=1
	s_or_b64 exec, exec, s[10:11]
	s_and_saveexec_b64 s[10:11], s[12:13]
	s_cbranch_execz .LBB7_379
.LBB7_378:                              ;   in Loop: Header=BB7_367 Depth=1
	v_ashrrev_i32_e32 v11, 31, v10
	v_lshlrev_b64 v[10:11], 2, v[10:11]
	v_add_co_u32_e32 v14, vcc, v4, v10
	v_addc_co_u32_e32 v15, vcc, v5, v11, vcc
	v_add_co_u32_e32 v10, vcc, v6, v10
	v_add_u32_e32 v18, 2, v3
	v_addc_co_u32_e32 v11, vcc, v7, v11, vcc
	flat_store_dword v[14:15], v12
	flat_store_dword v[10:11], v18
.LBB7_379:                              ;   in Loop: Header=BB7_367 Depth=1
	s_or_b64 exec, exec, s[10:11]
	v_cmp_gt_i32_e32 vcc, 0, v13
	v_cndmask_b32_e64 v10, v16, 0, vcc
	v_xor_b32_e32 v10, v10, v13
	v_and_b32_e32 v11, v10, v34
	v_cmp_ge_u32_e32 vcc, v11, v23
	s_mov_b64 s[12:13], 0
                                        ; implicit-def: $vgpr10
	s_and_saveexec_b64 s[10:11], vcc
	s_xor_b64 s[10:11], exec, s[10:11]
	s_cbranch_execnz .LBB7_412
; %bb.380:                              ;   in Loop: Header=BB7_367 Depth=1
	s_andn2_saveexec_b64 s[10:11], s[10:11]
	s_cbranch_execnz .LBB7_419
.LBB7_381:                              ;   in Loop: Header=BB7_367 Depth=1
	s_or_b64 exec, exec, s[10:11]
	s_and_saveexec_b64 s[10:11], s[12:13]
	s_cbranch_execz .LBB7_366
	s_branch .LBB7_422
.LBB7_382:                              ;   in Loop: Header=BB7_367 Depth=1
	v_cmp_eq_u32_e32 vcc, v15, v23
	s_mov_b64 s[14:15], 0
                                        ; implicit-def: $vgpr14
	s_and_saveexec_b64 s[12:13], vcc
	s_cbranch_execz .LBB7_388
; %bb.383:                              ;   in Loop: Header=BB7_367 Depth=1
	s_mov_b64 s[16:17], exec
	v_mbcnt_lo_u32_b32 v14, s16, 0
	v_mbcnt_hi_u32_b32 v14, s17, v14
	v_cmp_eq_u32_e32 vcc, 0, v14
                                        ; implicit-def: $vgpr15
	s_and_saveexec_b64 s[14:15], vcc
	s_cbranch_execz .LBB7_385
; %bb.384:                              ;   in Loop: Header=BB7_367 Depth=1
	s_bcnt1_i32_b64 s16, s[16:17]
	v_mov_b32_e32 v15, s16
	ds_add_rtn_u32 v15, v17, v15 offset:512
.LBB7_385:                              ;   in Loop: Header=BB7_367 Depth=1
	s_or_b64 exec, exec, s[14:15]
	s_waitcnt lgkmcnt(0)
	v_readfirstlane_b32 s14, v15
	v_add_u32_e32 v15, s14, v14
	v_cmp_lt_i32_e32 vcc, v15, v22
	s_mov_b64 s[14:15], 0
                                        ; implicit-def: $vgpr14
	s_and_saveexec_b64 s[16:17], vcc
	s_xor_b64 s[16:17], exec, s[16:17]
; %bb.386:                              ;   in Loop: Header=BB7_367 Depth=1
	s_mov_b64 s[14:15], exec
	v_xad_u32 v14, v15, -1, v9
; %bb.387:                              ;   in Loop: Header=BB7_367 Depth=1
	s_or_b64 exec, exec, s[16:17]
	s_and_b64 s[14:15], s[14:15], exec
.LBB7_388:                              ;   in Loop: Header=BB7_367 Depth=1
	s_or_b64 exec, exec, s[12:13]
	s_and_b64 s[12:13], s[14:15], exec
	s_andn2_saveexec_b64 s[10:11], s[10:11]
	s_cbranch_execz .LBB7_369
.LBB7_389:                              ;   in Loop: Header=BB7_367 Depth=1
	s_mov_b64 s[16:17], exec
	v_mbcnt_lo_u32_b32 v14, s16, 0
	v_mbcnt_hi_u32_b32 v14, s17, v14
	v_cmp_eq_u32_e32 vcc, 0, v14
                                        ; implicit-def: $vgpr15
	s_and_saveexec_b64 s[14:15], vcc
	s_cbranch_execz .LBB7_391
; %bb.390:                              ;   in Loop: Header=BB7_367 Depth=1
	s_bcnt1_i32_b64 s16, s[16:17]
	v_mov_b32_e32 v15, s16
	ds_add_rtn_u32 v15, v17, v15 offset:384
.LBB7_391:                              ;   in Loop: Header=BB7_367 Depth=1
	s_or_b64 exec, exec, s[14:15]
	s_waitcnt lgkmcnt(0)
	v_readfirstlane_b32 s14, v15
	v_add_u32_e32 v14, s14, v14
	s_or_b64 s[12:13], s[12:13], exec
	s_or_b64 exec, exec, s[10:11]
	s_and_saveexec_b64 s[10:11], s[12:13]
	s_cbranch_execnz .LBB7_370
	s_branch .LBB7_371
.LBB7_392:                              ;   in Loop: Header=BB7_367 Depth=1
	v_cmp_eq_u32_e32 vcc, v10, v23
	s_mov_b64 s[14:15], 0
                                        ; implicit-def: $vgpr14
	s_and_saveexec_b64 s[12:13], vcc
	s_cbranch_execz .LBB7_398
; %bb.393:                              ;   in Loop: Header=BB7_367 Depth=1
	s_mov_b64 s[16:17], exec
	v_mbcnt_lo_u32_b32 v10, s16, 0
	v_mbcnt_hi_u32_b32 v10, s17, v10
	v_cmp_eq_u32_e32 vcc, 0, v10
                                        ; implicit-def: $vgpr14
	s_and_saveexec_b64 s[14:15], vcc
	s_cbranch_execz .LBB7_395
; %bb.394:                              ;   in Loop: Header=BB7_367 Depth=1
	s_bcnt1_i32_b64 s16, s[16:17]
	v_mov_b32_e32 v14, s16
	ds_add_rtn_u32 v14, v17, v14 offset:512
.LBB7_395:                              ;   in Loop: Header=BB7_367 Depth=1
	s_or_b64 exec, exec, s[14:15]
	s_waitcnt lgkmcnt(0)
	v_readfirstlane_b32 s14, v14
	v_add_u32_e32 v10, s14, v10
	v_cmp_lt_i32_e32 vcc, v10, v22
	s_mov_b64 s[14:15], 0
                                        ; implicit-def: $vgpr14
	s_and_saveexec_b64 s[16:17], vcc
; %bb.396:                              ;   in Loop: Header=BB7_367 Depth=1
	s_mov_b64 s[14:15], exec
	v_xad_u32 v14, v10, -1, v9
; %bb.397:                              ;   in Loop: Header=BB7_367 Depth=1
	s_or_b64 exec, exec, s[16:17]
	s_and_b64 s[14:15], s[14:15], exec
.LBB7_398:                              ;   in Loop: Header=BB7_367 Depth=1
	s_or_b64 exec, exec, s[12:13]
	s_and_b64 s[12:13], s[14:15], exec
	s_andn2_saveexec_b64 s[10:11], s[10:11]
	s_cbranch_execz .LBB7_373
.LBB7_399:                              ;   in Loop: Header=BB7_367 Depth=1
	s_mov_b64 s[16:17], exec
	v_mbcnt_lo_u32_b32 v10, s16, 0
	v_mbcnt_hi_u32_b32 v10, s17, v10
	v_cmp_eq_u32_e32 vcc, 0, v10
                                        ; implicit-def: $vgpr14
	s_and_saveexec_b64 s[14:15], vcc
	s_cbranch_execz .LBB7_401
; %bb.400:                              ;   in Loop: Header=BB7_367 Depth=1
	s_bcnt1_i32_b64 s16, s[16:17]
	v_mov_b32_e32 v14, s16
	ds_add_rtn_u32 v14, v17, v14 offset:384
.LBB7_401:                              ;   in Loop: Header=BB7_367 Depth=1
	s_or_b64 exec, exec, s[14:15]
	s_waitcnt lgkmcnt(0)
	v_readfirstlane_b32 s14, v14
	v_add_u32_e32 v14, s14, v10
	s_or_b64 s[12:13], s[12:13], exec
	s_or_b64 exec, exec, s[10:11]
	s_and_saveexec_b64 s[10:11], s[12:13]
	s_cbranch_execnz .LBB7_374
	s_branch .LBB7_375
.LBB7_402:                              ;   in Loop: Header=BB7_367 Depth=1
	v_cmp_eq_u32_e32 vcc, v11, v23
	s_mov_b64 s[14:15], 0
                                        ; implicit-def: $vgpr10
	s_and_saveexec_b64 s[12:13], vcc
	s_cbranch_execz .LBB7_408
; %bb.403:                              ;   in Loop: Header=BB7_367 Depth=1
	s_mov_b64 s[16:17], exec
	v_mbcnt_lo_u32_b32 v10, s16, 0
	v_mbcnt_hi_u32_b32 v10, s17, v10
	v_cmp_eq_u32_e32 vcc, 0, v10
                                        ; implicit-def: $vgpr11
	s_and_saveexec_b64 s[14:15], vcc
	s_cbranch_execz .LBB7_405
; %bb.404:                              ;   in Loop: Header=BB7_367 Depth=1
	s_bcnt1_i32_b64 s16, s[16:17]
	v_mov_b32_e32 v11, s16
	ds_add_rtn_u32 v11, v17, v11 offset:512
.LBB7_405:                              ;   in Loop: Header=BB7_367 Depth=1
	s_or_b64 exec, exec, s[14:15]
	s_waitcnt lgkmcnt(0)
	v_readfirstlane_b32 s14, v11
	v_add_u32_e32 v11, s14, v10
	v_cmp_lt_i32_e32 vcc, v11, v22
	s_mov_b64 s[14:15], 0
                                        ; implicit-def: $vgpr10
	s_and_saveexec_b64 s[16:17], vcc
; %bb.406:                              ;   in Loop: Header=BB7_367 Depth=1
	s_mov_b64 s[14:15], exec
	v_xad_u32 v10, v11, -1, v9
; %bb.407:                              ;   in Loop: Header=BB7_367 Depth=1
	s_or_b64 exec, exec, s[16:17]
	s_and_b64 s[14:15], s[14:15], exec
.LBB7_408:                              ;   in Loop: Header=BB7_367 Depth=1
	s_or_b64 exec, exec, s[12:13]
	s_and_b64 s[12:13], s[14:15], exec
	s_andn2_saveexec_b64 s[10:11], s[10:11]
	s_cbranch_execz .LBB7_377
.LBB7_409:                              ;   in Loop: Header=BB7_367 Depth=1
	s_mov_b64 s[16:17], exec
	v_mbcnt_lo_u32_b32 v10, s16, 0
	v_mbcnt_hi_u32_b32 v10, s17, v10
	v_cmp_eq_u32_e32 vcc, 0, v10
                                        ; implicit-def: $vgpr11
	s_and_saveexec_b64 s[14:15], vcc
	s_cbranch_execz .LBB7_411
; %bb.410:                              ;   in Loop: Header=BB7_367 Depth=1
	s_bcnt1_i32_b64 s16, s[16:17]
	v_mov_b32_e32 v11, s16
	ds_add_rtn_u32 v11, v17, v11 offset:384
.LBB7_411:                              ;   in Loop: Header=BB7_367 Depth=1
	s_or_b64 exec, exec, s[14:15]
	s_waitcnt lgkmcnt(0)
	v_readfirstlane_b32 s14, v11
	v_add_u32_e32 v10, s14, v10
	s_or_b64 s[12:13], s[12:13], exec
	s_or_b64 exec, exec, s[10:11]
	s_and_saveexec_b64 s[10:11], s[12:13]
	s_cbranch_execnz .LBB7_378
	s_branch .LBB7_379
.LBB7_412:                              ;   in Loop: Header=BB7_367 Depth=1
	v_cmp_eq_u32_e32 vcc, v11, v23
	s_mov_b64 s[14:15], 0
                                        ; implicit-def: $vgpr10
	s_and_saveexec_b64 s[12:13], vcc
	s_cbranch_execz .LBB7_418
; %bb.413:                              ;   in Loop: Header=BB7_367 Depth=1
	s_mov_b64 s[16:17], exec
	v_mbcnt_lo_u32_b32 v10, s16, 0
	v_mbcnt_hi_u32_b32 v10, s17, v10
	v_cmp_eq_u32_e32 vcc, 0, v10
                                        ; implicit-def: $vgpr11
	s_and_saveexec_b64 s[14:15], vcc
	s_cbranch_execz .LBB7_415
; %bb.414:                              ;   in Loop: Header=BB7_367 Depth=1
	s_bcnt1_i32_b64 s16, s[16:17]
	v_mov_b32_e32 v11, s16
	ds_add_rtn_u32 v11, v17, v11 offset:512
.LBB7_415:                              ;   in Loop: Header=BB7_367 Depth=1
	s_or_b64 exec, exec, s[14:15]
	s_waitcnt lgkmcnt(0)
	v_readfirstlane_b32 s14, v11
	v_add_u32_e32 v11, s14, v10
	v_cmp_lt_i32_e32 vcc, v11, v22
	s_mov_b64 s[14:15], 0
                                        ; implicit-def: $vgpr10
	s_and_saveexec_b64 s[16:17], vcc
; %bb.416:                              ;   in Loop: Header=BB7_367 Depth=1
	s_mov_b64 s[14:15], exec
	v_xad_u32 v10, v11, -1, v9
; %bb.417:                              ;   in Loop: Header=BB7_367 Depth=1
	s_or_b64 exec, exec, s[16:17]
	s_and_b64 s[14:15], s[14:15], exec
.LBB7_418:                              ;   in Loop: Header=BB7_367 Depth=1
	s_or_b64 exec, exec, s[12:13]
	s_and_b64 s[12:13], s[14:15], exec
	s_andn2_saveexec_b64 s[10:11], s[10:11]
	s_cbranch_execz .LBB7_381
.LBB7_419:                              ;   in Loop: Header=BB7_367 Depth=1
	s_mov_b64 s[16:17], exec
	v_mbcnt_lo_u32_b32 v10, s16, 0
	v_mbcnt_hi_u32_b32 v10, s17, v10
	v_cmp_eq_u32_e32 vcc, 0, v10
                                        ; implicit-def: $vgpr11
	s_and_saveexec_b64 s[14:15], vcc
	s_cbranch_execz .LBB7_421
; %bb.420:                              ;   in Loop: Header=BB7_367 Depth=1
	s_bcnt1_i32_b64 s16, s[16:17]
	v_mov_b32_e32 v11, s16
	ds_add_rtn_u32 v11, v17, v11 offset:384
.LBB7_421:                              ;   in Loop: Header=BB7_367 Depth=1
	s_or_b64 exec, exec, s[14:15]
	s_waitcnt lgkmcnt(0)
	v_readfirstlane_b32 s14, v11
	v_add_u32_e32 v10, s14, v10
	s_or_b64 s[12:13], s[12:13], exec
	s_or_b64 exec, exec, s[10:11]
	s_and_saveexec_b64 s[10:11], s[12:13]
	s_cbranch_execz .LBB7_366
.LBB7_422:                              ;   in Loop: Header=BB7_367 Depth=1
	v_ashrrev_i32_e32 v11, 31, v10
	v_lshlrev_b64 v[10:11], 2, v[10:11]
	v_add_co_u32_e32 v14, vcc, v4, v10
	v_addc_co_u32_e32 v15, vcc, v5, v11, vcc
	v_add_co_u32_e32 v10, vcc, v6, v10
	v_add_u32_e32 v12, 3, v3
	v_addc_co_u32_e32 v11, vcc, v7, v11, vcc
	flat_store_dword v[14:15], v13
	flat_store_dword v[10:11], v12
	s_branch .LBB7_366
.LBB7_423:
	s_or_b64 exec, exec, s[6:7]
	v_cmp_gt_u32_e32 vcc, v24, v2
	s_and_saveexec_b64 s[6:7], vcc
	s_cbranch_execz .LBB7_428
; %bb.424:
	v_lshlrev_b32_e32 v3, 2, v2
	v_add_co_u32_e32 v10, vcc, v0, v3
	v_addc_co_u32_e32 v11, vcc, 0, v1, vcc
	flat_load_dword v3, v[10:11]
	v_bfrev_b32_e32 v10, -2
	s_mov_b64 s[10:11], 0
	s_waitcnt vmcnt(0) lgkmcnt(0)
	v_cmp_gt_i32_e32 vcc, 0, v3
	v_cndmask_b32_e64 v10, v10, 0, vcc
	v_xor_b32_e32 v10, v10, v3
	v_and_b32_e32 v11, v10, v34
	v_cmp_ge_u32_e32 vcc, v11, v23
                                        ; implicit-def: $vgpr10
	s_and_saveexec_b64 s[8:9], vcc
	s_xor_b64 s[8:9], exec, s[8:9]
	s_cbranch_execnz .LBB7_435
; %bb.425:
	s_andn2_saveexec_b64 s[8:9], s[8:9]
	s_cbranch_execnz .LBB7_442
.LBB7_426:
	s_or_b64 exec, exec, s[8:9]
	s_and_b64 exec, exec, s[10:11]
	s_cbranch_execz .LBB7_428
.LBB7_427:
	v_ashrrev_i32_e32 v11, 31, v10
	v_lshlrev_b64 v[10:11], 2, v[10:11]
	v_add_co_u32_e32 v12, vcc, v4, v10
	v_addc_co_u32_e32 v13, vcc, v5, v11, vcc
	v_add_co_u32_e32 v10, vcc, v6, v10
	v_addc_co_u32_e32 v11, vcc, v7, v11, vcc
	flat_store_dword v[12:13], v3
	flat_store_dword v[10:11], v2
.LBB7_428:
	s_or_b64 exec, exec, s[6:7]
	v_lshlrev_b32_e32 v3, 2, v26
	v_add3_u32 v2, v24, v2, v3
	v_cmp_lt_i32_e32 vcc, v2, v8
	s_and_saveexec_b64 s[6:7], vcc
	s_cbranch_execz .LBB7_433
; %bb.429:
	v_ashrrev_i32_e32 v3, 31, v2
	v_lshlrev_b64 v[10:11], 2, v[2:3]
	v_add_co_u32_e32 v0, vcc, v0, v10
	v_addc_co_u32_e32 v1, vcc, v1, v11, vcc
	flat_load_dword v3, v[0:1]
	v_bfrev_b32_e32 v0, -2
	s_mov_b64 s[10:11], 0
	s_waitcnt vmcnt(0) lgkmcnt(0)
	v_cmp_gt_i32_e32 vcc, 0, v3
	v_cndmask_b32_e64 v0, v0, 0, vcc
	v_xor_b32_e32 v0, v0, v3
	v_and_b32_e32 v1, v0, v34
	v_cmp_ge_u32_e32 vcc, v1, v23
                                        ; implicit-def: $vgpr0
	s_and_saveexec_b64 s[8:9], vcc
	s_xor_b64 s[8:9], exec, s[8:9]
	s_cbranch_execnz .LBB7_445
; %bb.430:
	s_andn2_saveexec_b64 s[8:9], s[8:9]
	s_cbranch_execnz .LBB7_452
.LBB7_431:
	s_or_b64 exec, exec, s[8:9]
	s_and_b64 exec, exec, s[10:11]
	s_cbranch_execz .LBB7_433
.LBB7_432:
	v_ashrrev_i32_e32 v1, 31, v0
	v_lshlrev_b64 v[0:1], 2, v[0:1]
	v_add_co_u32_e32 v4, vcc, v4, v0
	v_addc_co_u32_e32 v5, vcc, v5, v1, vcc
	v_add_co_u32_e32 v0, vcc, v6, v0
	v_addc_co_u32_e32 v1, vcc, v7, v1, vcc
	flat_store_dword v[4:5], v3
	flat_store_dword v[0:1], v2
.LBB7_433:
	s_or_b64 exec, exec, s[6:7]
.LBB7_434:
	s_or_b64 exec, exec, s[4:5]
	v_accvgpr_read_b32 v47, a7              ;  Reload Reuse
	v_accvgpr_read_b32 v46, a6              ;  Reload Reuse
	;; [unrolled: 1-line block ×8, first 2 shown]
	s_waitcnt vmcnt(0) lgkmcnt(0)
	s_setpc_b64 s[30:31]
.LBB7_435:
	v_cmp_eq_u32_e32 vcc, v11, v23
	s_mov_b64 s[12:13], 0
                                        ; implicit-def: $vgpr10
	s_and_saveexec_b64 s[10:11], vcc
	s_cbranch_execz .LBB7_441
; %bb.436:
	s_mov_b64 s[14:15], exec
	v_mbcnt_lo_u32_b32 v10, s14, 0
	v_mbcnt_hi_u32_b32 v10, s15, v10
	v_cmp_eq_u32_e32 vcc, 0, v10
                                        ; implicit-def: $vgpr11
	s_and_saveexec_b64 s[12:13], vcc
	s_cbranch_execz .LBB7_438
; %bb.437:
	s_bcnt1_i32_b64 s14, s[14:15]
	v_mov_b32_e32 v11, 0
	v_mov_b32_e32 v12, s14
	ds_add_rtn_u32 v11, v11, v12 offset:512
.LBB7_438:
	s_or_b64 exec, exec, s[12:13]
	s_waitcnt lgkmcnt(0)
	v_readfirstlane_b32 s12, v11
	v_add_u32_e32 v11, s12, v10
	v_cmp_lt_i32_e32 vcc, v11, v22
	s_mov_b64 s[12:13], 0
                                        ; implicit-def: $vgpr10
	s_and_saveexec_b64 s[14:15], vcc
	s_xor_b64 s[14:15], exec, s[14:15]
; %bb.439:
	s_mov_b64 s[12:13], exec
	v_xad_u32 v10, v11, -1, v9
; %bb.440:
	s_or_b64 exec, exec, s[14:15]
	s_and_b64 s[12:13], s[12:13], exec
.LBB7_441:
	s_or_b64 exec, exec, s[10:11]
	s_and_b64 s[10:11], s[12:13], exec
	s_andn2_saveexec_b64 s[8:9], s[8:9]
	s_cbranch_execz .LBB7_426
.LBB7_442:
	s_mov_b64 s[14:15], exec
	v_mbcnt_lo_u32_b32 v10, s14, 0
	v_mbcnt_hi_u32_b32 v10, s15, v10
	v_cmp_eq_u32_e32 vcc, 0, v10
                                        ; implicit-def: $vgpr11
	s_and_saveexec_b64 s[12:13], vcc
	s_cbranch_execz .LBB7_444
; %bb.443:
	s_bcnt1_i32_b64 s14, s[14:15]
	v_mov_b32_e32 v11, 0
	v_mov_b32_e32 v12, s14
	ds_add_rtn_u32 v11, v11, v12 offset:384
.LBB7_444:
	s_or_b64 exec, exec, s[12:13]
	s_waitcnt lgkmcnt(0)
	v_readfirstlane_b32 s12, v11
	v_add_u32_e32 v10, s12, v10
	s_or_b64 s[10:11], s[10:11], exec
	s_or_b64 exec, exec, s[8:9]
	s_and_b64 exec, exec, s[10:11]
	s_cbranch_execnz .LBB7_427
	s_branch .LBB7_428
.LBB7_445:
	v_cmp_eq_u32_e32 vcc, v1, v23
	s_mov_b64 s[12:13], 0
                                        ; implicit-def: $vgpr0
	s_and_saveexec_b64 s[10:11], vcc
	s_cbranch_execz .LBB7_451
; %bb.446:
	s_mov_b64 s[14:15], exec
	v_mbcnt_lo_u32_b32 v0, s14, 0
	v_mbcnt_hi_u32_b32 v0, s15, v0
	v_cmp_eq_u32_e32 vcc, 0, v0
                                        ; implicit-def: $vgpr1
	s_and_saveexec_b64 s[12:13], vcc
	s_cbranch_execz .LBB7_448
; %bb.447:
	s_bcnt1_i32_b64 s14, s[14:15]
	v_mov_b32_e32 v1, 0
	v_mov_b32_e32 v8, s14
	ds_add_rtn_u32 v1, v1, v8 offset:512
.LBB7_448:
	s_or_b64 exec, exec, s[12:13]
	s_waitcnt lgkmcnt(0)
	v_readfirstlane_b32 s12, v1
	v_add_u32_e32 v1, s12, v0
	v_cmp_lt_i32_e32 vcc, v1, v22
	s_mov_b64 s[12:13], 0
                                        ; implicit-def: $vgpr0
	s_and_saveexec_b64 s[14:15], vcc
	s_xor_b64 s[14:15], exec, s[14:15]
; %bb.449:
	s_mov_b64 s[12:13], exec
	v_xad_u32 v0, v1, -1, v9
; %bb.450:
	s_or_b64 exec, exec, s[14:15]
	s_and_b64 s[12:13], s[12:13], exec
.LBB7_451:
	s_or_b64 exec, exec, s[10:11]
	s_and_b64 s[10:11], s[12:13], exec
	s_andn2_saveexec_b64 s[8:9], s[8:9]
	s_cbranch_execz .LBB7_431
.LBB7_452:
	s_mov_b64 s[14:15], exec
	v_mbcnt_lo_u32_b32 v0, s14, 0
	v_mbcnt_hi_u32_b32 v0, s15, v0
	v_cmp_eq_u32_e32 vcc, 0, v0
                                        ; implicit-def: $vgpr1
	s_and_saveexec_b64 s[12:13], vcc
	s_cbranch_execz .LBB7_454
; %bb.453:
	s_bcnt1_i32_b64 s14, s[14:15]
	v_mov_b32_e32 v1, 0
	v_mov_b32_e32 v8, s14
	ds_add_rtn_u32 v1, v1, v8 offset:384
.LBB7_454:
	s_or_b64 exec, exec, s[12:13]
	s_waitcnt lgkmcnt(0)
	v_readfirstlane_b32 s12, v1
	v_add_u32_e32 v0, s12, v0
	s_or_b64 s[10:11], s[10:11], exec
	s_or_b64 exec, exec, s[8:9]
	s_and_b64 exec, exec, s[10:11]
	s_cbranch_execnz .LBB7_432
	s_branch .LBB7_433
.Lfunc_end7:
	.size	_ZN5aiter2ob11last_filterIfiLi11ELb1ELb0EEEvPKT_PKT0_PS2_PS5_S5_S5_PNS0_7CounterIS2_S5_EEbib, .Lfunc_end7-_ZN5aiter2ob11last_filterIfiLi11ELb1ELb0EEEvPKT_PKT0_PS2_PS5_S5_S5_PNS0_7CounterIS2_S5_EEbib
                                        ; -- End function
	.section	.AMDGPU.csdata,"",@progbits
; Function info:
; codeLenInByte = 11472
; NumSgprs: 36
; NumVgprs: 56
; NumAgprs: 8
; TotalNumVgprs: 64
; ScratchSize: 0
; MemoryBound: 0
	.section	.text._ZN5aiter2ob27radix_topk_one_block_kernelIfiLi11ELi1024ELb1ELb0ELNS0_5PhaseE0EEEvPKT_PKT0_lS8_S8_S6_PS3_PS6_bPci,"axG",@progbits,_ZN5aiter2ob27radix_topk_one_block_kernelIfiLi11ELi1024ELb1ELb0ELNS0_5PhaseE0EEEvPKT_PKT0_lS8_S8_S6_PS3_PS6_bPci,comdat
	.protected	_ZN5aiter2ob27radix_topk_one_block_kernelIfiLi11ELi1024ELb1ELb0ELNS0_5PhaseE0EEEvPKT_PKT0_lS8_S8_S6_PS3_PS6_bPci ; -- Begin function _ZN5aiter2ob27radix_topk_one_block_kernelIfiLi11ELi1024ELb1ELb0ELNS0_5PhaseE0EEEvPKT_PKT0_lS8_S8_S6_PS3_PS6_bPci
	.globl	_ZN5aiter2ob27radix_topk_one_block_kernelIfiLi11ELi1024ELb1ELb0ELNS0_5PhaseE0EEEvPKT_PKT0_lS8_S8_S6_PS3_PS6_bPci
	.p2align	8
	.type	_ZN5aiter2ob27radix_topk_one_block_kernelIfiLi11ELi1024ELb1ELb0ELNS0_5PhaseE0EEEvPKT_PKT0_lS8_S8_S6_PS3_PS6_bPci,@function
_ZN5aiter2ob27radix_topk_one_block_kernelIfiLi11ELi1024ELb1ELb0ELNS0_5PhaseE0EEEvPKT_PKT0_lS8_S8_S6_PS3_PS6_bPci: ; @_ZN5aiter2ob27radix_topk_one_block_kernelIfiLi11ELi1024ELb1ELb0ELNS0_5PhaseE0EEEvPKT_PKT0_lS8_S8_S6_PS3_PS6_bPci
; %bb.0:
	s_add_u32 flat_scratch_lo, s6, s9
	s_addc_u32 flat_scratch_hi, s7, 0
	s_load_dwordx8 s[20:27], s[4:5], 0x0
	s_load_dwordx2 s[6:7], s[4:5], 0x20
	s_add_u32 s0, s0, s9
	s_addc_u32 s1, s1, 0
	s_mov_b32 s12, s8
	s_waitcnt lgkmcnt(0)
	s_cmp_eq_u64 s[26:27], 0
	s_cselect_b64 s[8:9], -1, 0
	s_cmp_eq_u64 s[6:7], 0
	s_cselect_b64 s[10:11], -1, 0
	s_mov_b32 s13, 0
	s_or_b64 s[8:9], s[8:9], s[10:11]
	v_mov_b32_e32 v44, v0
	s_and_b64 vcc, exec, s[8:9]
	s_mov_b32 s33, s13
	s_mov_b32 s8, s24
	;; [unrolled: 1-line block ×3, first 2 shown]
	s_cbranch_vccnz .LBB8_2
; %bb.1:
	s_lshl_b64 s[8:9], s[12:13], 2
	s_add_u32 s6, s6, s8
	s_addc_u32 s7, s7, s9
	s_add_u32 s10, s26, s8
	s_addc_u32 s11, s27, s9
	s_load_dword s33, s[10:11], 0x0
	s_load_dword s8, s[6:7], 0x0
.LBB8_2:
	s_load_dword s42, s[4:5], 0x28
	s_waitcnt lgkmcnt(0)
	s_sub_i32 s13, s8, s33
	v_cmp_ne_u32_e64 s[8:9], 0, v44
	v_cmp_eq_u32_e64 s[6:7], 0, v44
	s_and_saveexec_b64 s[10:11], s[6:7]
	s_cbranch_execz .LBB8_4
; %bb.3:
	v_mov_b32_e32 v3, 0
	v_mov_b32_e32 v0, s42
	v_mov_b32_e32 v1, s13
	v_mov_b32_e32 v2, s13
	ds_write_b128 v3, v[0:3]
	ds_write2_b32 v3, v3, v3 offset0:96 offset1:128
.LBB8_4:
	s_or_b64 exec, exec, s[10:11]
	s_mul_i32 s10, s12, s25
	s_mul_hi_u32 s11, s12, s24
	s_add_i32 s11, s11, s10
	s_mul_i32 s10, s12, s24
	s_ashr_i32 s15, s33, 31
	s_load_dwordx4 s[36:39], s[4:5], 0x30
	s_add_u32 s14, s10, s33
	s_addc_u32 s15, s11, s15
	s_ashr_i32 s10, s42, 31
	s_mul_hi_u32 s11, s42, s12
	s_mul_i32 s10, s10, s12
	s_add_i32 s25, s11, s10
	s_mul_i32 s24, s42, s12
	s_cmp_gt_i32 s13, s42
	s_mov_b64 s[10:11], -1
	s_waitcnt lgkmcnt(0)
	s_barrier
	s_cbranch_scc1 .LBB8_11
; %bb.5:
	v_cmp_gt_i32_e32 vcc, s42, v44
	s_and_saveexec_b64 s[16:17], vcc
	s_cbranch_execz .LBB8_10
; %bb.6:
	s_lshl_b64 s[10:11], s[24:25], 2
	v_lshlrev_b32_e32 v2, 2, v44
	v_mov_b32_e32 v0, s11
	v_add_co_u32_e32 v4, vcc, s10, v2
	v_addc_co_u32_e32 v5, vcc, 0, v0, vcc
	s_lshl_b64 s[10:11], s[14:15], 2
	v_mov_b32_e32 v1, s39
	v_add_co_u32_e32 v0, vcc, s38, v4
	s_add_u32 s10, s20, s10
	v_addc_co_u32_e32 v1, vcc, v1, v5, vcc
	s_addc_u32 s11, s21, s11
	v_mov_b32_e32 v3, s11
	v_add_co_u32_e32 v2, vcc, s10, v2
	v_addc_co_u32_e32 v3, vcc, 0, v3, vcc
	v_mov_b32_e32 v6, s37
	v_add_co_u32_e32 v4, vcc, s36, v4
	v_addc_co_u32_e32 v5, vcc, v6, v5, vcc
	s_mov_b64 s[18:19], 0
	v_mov_b32_e32 v6, v44
	s_branch .LBB8_8
.LBB8_7:                                ;   in Loop: Header=BB8_8 Depth=1
	s_or_b64 exec, exec, s[10:11]
	v_add_co_u32_e32 v0, vcc, 0x1000, v0
	v_addc_co_u32_e32 v1, vcc, 0, v1, vcc
	v_add_co_u32_e32 v2, vcc, 0x1000, v2
	v_add_u32_e32 v6, 0x400, v6
	v_addc_co_u32_e32 v3, vcc, 0, v3, vcc
	s_waitcnt vmcnt(0)
	global_store_dword v[4:5], v7, off
	v_add_co_u32_e32 v4, vcc, 0x1000, v4
	v_cmp_le_i32_e64 s[10:11], s42, v6
	s_or_b64 s[18:19], s[10:11], s[18:19]
	v_addc_co_u32_e32 v5, vcc, 0, v5, vcc
	s_andn2_b64 exec, exec, s[18:19]
	s_cbranch_execz .LBB8_10
.LBB8_8:                                ; =>This Inner Loop Header: Depth=1
	v_add_u32_e32 v7, s33, v6
	v_cmp_gt_i32_e32 vcc, s13, v6
	v_cndmask_b32_e32 v7, -1, v7, vcc
	global_store_dword v[0:1], v7, off
	v_mov_b32_e32 v7, 0
	s_and_saveexec_b64 s[10:11], vcc
	s_cbranch_execz .LBB8_7
; %bb.9:                                ;   in Loop: Header=BB8_8 Depth=1
	global_load_dword v7, v[2:3], off
	s_branch .LBB8_7
.LBB8_10:
	s_or_b64 exec, exec, s[16:17]
	s_mov_b64 s[10:11], 0
.LBB8_11:
	s_andn2_b64 vcc, exec, s[10:11]
	s_cbranch_vccnz .LBB8_225
; %bb.12:
	s_load_dword s16, s[4:5], 0x64
	s_movk_i32 s10, 0x800
	s_waitcnt lgkmcnt(0)
	s_and_b32 s43, s16, 0xffff
	v_cvt_f32_u32_e32 v0, s43
	v_add_u32_e32 v1, s43, v44
	v_mov_b32_e32 v2, s43
	s_sub_i32 s17, 0, s43
	v_rcp_iflag_f32_e32 v0, v0
	v_cmp_gt_u32_e32 vcc, s10, v1
	v_max_u32_e32 v3, 0x800, v1
	v_addc_co_u32_e64 v1, s[10:11], v44, v2, vcc
	v_mul_f32_e32 v0, 0x4f7ffffe, v0
	v_cvt_u32_f32_e32 v0, v0
	v_sub_u32_e32 v1, v3, v1
	v_mul_lo_u32 v2, s17, v0
	v_mul_hi_u32 v2, v0, v2
	v_add_u32_e32 v0, v0, v2
	v_mul_hi_u32 v0, v1, v0
	v_mul_lo_u32 v2, v0, s43
	v_sub_u32_e32 v1, v1, v2
	v_add_u32_e32 v3, 1, v0
	v_cmp_le_u32_e64 s[10:11], s43, v1
	v_subrev_u32_e32 v2, s43, v1
	v_cndmask_b32_e64 v0, v0, v3, s[10:11]
	v_cndmask_b32_e64 v1, v1, v2, s[10:11]
	v_add_u32_e32 v2, 1, v0
	v_cmp_le_u32_e64 s[10:11], s43, v1
	v_cndmask_b32_e64 v0, v0, v2, s[10:11]
	v_addc_co_u32_e64 v33, s[10:11], 0, v0, vcc
	v_addc_co_u32_e32 v27, vcc, 1, v0, vcc
	v_cmp_lt_u32_e32 vcc, 1, v27
	v_cmp_eq_u16_e64 s[10:11], s16, 1
	s_and_b64 s[30:31], vcc, s[10:11]
	s_mov_b64 s[16:17], -1
	v_mov_b32_e32 v0, v44
	s_and_saveexec_b64 s[10:11], s[30:31]
	s_cbranch_execz .LBB8_21
; %bb.13:
	v_add_u32_e32 v1, -1, v33
	v_lshrrev_b32_e32 v0, 1, v1
	v_add_u32_e32 v0, 1, v0
	v_cmp_lt_u32_e32 vcc, 13, v1
	v_mov_b32_e32 v4, 0
	s_and_saveexec_b64 s[16:17], vcc
	s_cbranch_execz .LBB8_17
; %bb.14:
	v_mov_b32_e32 v2, 0x2380
	v_and_b32_e32 v1, -8, v0
	v_lshl_add_u32 v2, v44, 2, v2
	s_mov_b32 s26, 0
	s_mov_b64 s[18:19], 0
	v_mov_b32_e32 v3, 0
.LBB8_15:                               ; =>This Inner Loop Header: Depth=1
	v_add_u32_e32 v1, -8, v1
	s_add_i32 s26, s26, 16
	v_cmp_eq_u32_e32 vcc, 0, v1
	ds_write2_b32 v2, v3, v3 offset1:1
	ds_write2_b32 v2, v3, v3 offset0:2 offset1:3
	ds_write2_b32 v2, v3, v3 offset0:4 offset1:5
	;; [unrolled: 1-line block ×7, first 2 shown]
	v_add_u32_e32 v2, 64, v2
	s_or_b64 s[18:19], vcc, s[18:19]
	v_mov_b32_e32 v4, s26
	s_andn2_b64 exec, exec, s[18:19]
	s_cbranch_execnz .LBB8_15
; %bb.16:
	s_or_b64 exec, exec, s[18:19]
.LBB8_17:
	s_or_b64 exec, exec, s[16:17]
	v_and_b32_e32 v0, 7, v0
	v_cmp_ne_u32_e32 vcc, 0, v0
	s_and_saveexec_b64 s[16:17], vcc
	s_cbranch_execz .LBB8_20
; %bb.18:
	v_lshlrev_b32_e32 v1, 2, v4
	v_lshlrev_b32_e32 v2, 2, v44
	s_movk_i32 s18, 0x2380
	v_add3_u32 v1, v1, v2, s18
	s_mov_b64 s[18:19], 0
	v_mov_b32_e32 v2, 0
.LBB8_19:                               ; =>This Inner Loop Header: Depth=1
	v_add_u32_e32 v0, -1, v0
	v_cmp_eq_u32_e32 vcc, 0, v0
	ds_write2_b32 v1, v2, v2 offset1:1
	s_or_b64 s[18:19], vcc, s[18:19]
	v_add_u32_e32 v1, 8, v1
	s_andn2_b64 exec, exec, s[18:19]
	s_cbranch_execnz .LBB8_19
.LBB8_20:
	s_or_b64 exec, exec, s[16:17]
	v_and_b32_e32 v1, -2, v27
	v_cmp_ne_u32_e32 vcc, v27, v1
	v_add_u32_e32 v0, v44, v1
	s_orn2_b64 s[16:17], vcc, exec
.LBB8_21:
	s_or_b64 exec, exec, s[10:11]
	s_lshl_b32 s46, s43, 2
	s_and_saveexec_b64 s[10:11], s[16:17]
	s_cbranch_execz .LBB8_24
; %bb.22:
	v_mov_b32_e32 v1, 0x2380
	v_lshl_add_u32 v1, v0, 2, v1
	s_mov_b64 s[16:17], 0
	v_mov_b32_e32 v2, 0
	s_movk_i32 s18, 0x7ff
.LBB8_23:                               ; =>This Inner Loop Header: Depth=1
	v_add_u32_e32 v0, s43, v0
	v_cmp_lt_u32_e32 vcc, s18, v0
	ds_write_b32 v1, v2
	s_or_b64 s[16:17], vcc, s[16:17]
	v_add_u32_e32 v1, s46, v1
	s_andn2_b64 exec, exec, s[16:17]
	s_cbranch_execnz .LBB8_23
.LBB8_24:
	s_or_b64 exec, exec, s[10:11]
	s_and_saveexec_b64 s[10:11], s[6:7]
	s_cbranch_execz .LBB8_26
; %bb.25:
	v_mov_b32_e32 v0, 0
	ds_write_b32 v0, v0 offset:128
.LBB8_26:
	s_or_b64 exec, exec, s[10:11]
	s_lshl_b64 s[26:27], s[14:15], 2
	s_add_u32 s45, s20, s26
	s_addc_u32 s44, s21, s27
	s_and_b32 s10, s45, 15
	s_sub_i32 s14, 16, s10
	s_mov_b32 s11, 0
	s_lshr_b32 s14, s14, 2
	s_cmp_lg_u64 s[10:11], 0
	s_cselect_b32 s10, s14, 0
	s_min_i32 s14, s10, s13
	s_ashr_i32 s15, s14, 31
	s_lshl_b64 s[10:11], s[14:15], 2
	s_add_u32 s47, s45, s10
	s_addc_u32 s48, s44, s11
	s_sub_i32 s10, s13, s14
	s_ashr_i32 s11, s10, 31
	s_lshr_b32 s11, s11, 30
	s_add_i32 s10, s10, s11
	s_ashr_i32 s28, s10, 2
	s_ashr_i32 s29, s28, 31
	s_lshl_b32 s15, s43, 4
	s_add_u32 s50, s47, s15
	v_mov_b32_e32 v45, 0
	s_addc_u32 s52, s48, 0
	v_mad_u64_u32 v[16:17], s[10:11], s43, 3, v[44:45]
	s_add_u32 s51, s50, s15
	s_mov_b64 s[16:17], 0
	s_mul_i32 s49, s43, 3
	v_cmp_gt_u64_e64 s[18:19], s[28:29], v[16:17]
	s_addc_u32 s53, s52, 0
	v_mov_b32_e32 v8, v44
	s_waitcnt lgkmcnt(0)
	s_barrier
	s_and_saveexec_b64 s[20:21], s[18:19]
	s_cbranch_execz .LBB8_30
; %bb.27:
	v_mov_b32_e32 v12, s48
	v_mov_b32_e32 v13, s52
	;; [unrolled: 1-line block ×5, first 2 shown]
	v_pk_mov_b32 v[10:11], v[16:17], v[16:17] op_sel:[0,1]
	v_pk_mov_b32 v[8:9], v[44:45], v[44:45] op_sel:[0,1]
.LBB8_28:                               ; =>This Inner Loop Header: Depth=1
	v_lshlrev_b64 v[4:5], 4, v[8:9]
	v_add_co_u32_e32 v0, vcc, s47, v4
	v_addc_co_u32_e32 v1, vcc, v12, v5, vcc
	global_load_dwordx4 v[0:3], v[0:1], off
	v_lshlrev_b64 v[6:7], 4, v[10:11]
	v_add_co_u32_e32 v10, vcc, s50, v4
	v_addc_co_u32_e32 v11, vcc, v13, v5, vcc
	global_load_dwordx4 v[20:23], v[10:11], off
	v_add_co_u32_e32 v24, vcc, s51, v4
	v_addc_co_u32_e32 v25, vcc, v18, v5, vcc
	v_add_co_u32_e32 v28, vcc, s47, v6
	v_addc_co_u32_e32 v29, vcc, v12, v7, vcc
	v_add_u32_e32 v8, s46, v8
	v_ashrrev_i32_e32 v9, 31, v8
	s_waitcnt vmcnt(1)
	v_cmp_gt_i32_e32 vcc, 0, v0
	v_cndmask_b32_e64 v4, v14, 0, vcc
	v_cmp_gt_i32_e32 vcc, 0, v1
	v_cndmask_b32_e64 v5, v14, 0, vcc
	;; [unrolled: 2-line block ×4, first 2 shown]
	v_xor_b32_e32 v0, v4, v0
	v_xor_b32_e32 v1, v5, v1
	v_xor_b32_e32 v2, v6, v2
	v_xor_b32_e32 v3, v7, v3
	v_lshrrev_b32_e32 v0, 19, v0
	v_lshrrev_b32_e32 v1, 19, v1
	;; [unrolled: 1-line block ×4, first 2 shown]
	v_and_b32_e32 v0, 0x1ffc, v0
	v_and_b32_e32 v1, 0x1ffc, v1
	;; [unrolled: 1-line block ×4, first 2 shown]
	ds_add_u32 v0, v15 offset:9088
	ds_add_u32 v1, v15 offset:9088
	;; [unrolled: 1-line block ×4, first 2 shown]
	global_load_dwordx4 v[4:7], v[24:25], off
	global_load_dwordx4 v[0:3], v[28:29], off
	s_waitcnt vmcnt(2)
	v_cmp_gt_i32_e64 s[10:11], 0, v20
	v_cndmask_b32_e64 v11, v14, 0, s[10:11]
	v_cmp_gt_i32_e64 s[10:11], 0, v21
	v_cndmask_b32_e64 v19, v14, 0, s[10:11]
	;; [unrolled: 2-line block ×4, first 2 shown]
	v_xor_b32_e32 v11, v11, v20
	v_xor_b32_e32 v19, v19, v21
	;; [unrolled: 1-line block ×4, first 2 shown]
	v_lshrrev_b32_e32 v11, 19, v11
	v_lshrrev_b32_e32 v19, 19, v19
	;; [unrolled: 1-line block ×4, first 2 shown]
	v_and_b32_e32 v11, 0x1ffc, v11
	v_and_b32_e32 v19, 0x1ffc, v19
	;; [unrolled: 1-line block ×4, first 2 shown]
	ds_add_u32 v11, v15 offset:9088
	ds_add_u32 v19, v15 offset:9088
	;; [unrolled: 1-line block ×4, first 2 shown]
	v_add_co_u32_e32 v10, vcc, s49, v8
	s_waitcnt vmcnt(1)
	v_cmp_gt_i32_e64 s[10:11], 0, v4
	v_cndmask_b32_e64 v11, v14, 0, s[10:11]
	v_cmp_gt_i32_e64 s[10:11], 0, v5
	v_cndmask_b32_e64 v19, v14, 0, s[10:11]
	;; [unrolled: 2-line block ×4, first 2 shown]
	s_waitcnt vmcnt(0)
	v_cmp_gt_i32_e64 s[10:11], 0, v0
	v_cndmask_b32_e64 v22, v14, 0, s[10:11]
	v_cmp_gt_i32_e64 s[10:11], 0, v1
	v_cndmask_b32_e64 v23, v14, 0, s[10:11]
	;; [unrolled: 2-line block ×4, first 2 shown]
	v_xor_b32_e32 v4, v11, v4
	v_xor_b32_e32 v5, v19, v5
	;; [unrolled: 1-line block ×8, first 2 shown]
	v_lshrrev_b32_e32 v4, 19, v4
	v_lshrrev_b32_e32 v5, 19, v5
	;; [unrolled: 1-line block ×8, first 2 shown]
	v_and_b32_e32 v4, 0x1ffc, v4
	v_and_b32_e32 v5, 0x1ffc, v5
	;; [unrolled: 1-line block ×8, first 2 shown]
	ds_add_u32 v4, v15 offset:9088
	ds_add_u32 v5, v15 offset:9088
	;; [unrolled: 1-line block ×8, first 2 shown]
	v_addc_co_u32_e32 v11, vcc, 0, v9, vcc
	v_cmp_le_u64_e32 vcc, s[28:29], v[10:11]
	s_or_b64 s[16:17], vcc, s[16:17]
	s_andn2_b64 exec, exec, s[16:17]
	s_cbranch_execnz .LBB8_28
; %bb.29:
	s_or_b64 exec, exec, s[16:17]
.LBB8_30:
	s_or_b64 exec, exec, s[20:21]
	v_cmp_gt_i32_e32 vcc, s28, v8
	s_and_saveexec_b64 s[10:11], vcc
	s_cbranch_execz .LBB8_33
; %bb.31:
	s_mov_b64 s[16:17], 0
	v_mov_b32_e32 v0, s48
	v_mov_b32_e32 v1, 0x7fe00000
	;; [unrolled: 1-line block ×3, first 2 shown]
.LBB8_32:                               ; =>This Inner Loop Header: Depth=1
	v_ashrrev_i32_e32 v9, 31, v8
	v_lshlrev_b64 v[4:5], 4, v[8:9]
	v_add_co_u32_e32 v4, vcc, s47, v4
	v_addc_co_u32_e32 v5, vcc, v0, v5, vcc
	global_load_dwordx4 v[4:7], v[4:5], off
	v_add_u32_e32 v8, s43, v8
	s_waitcnt vmcnt(0)
	v_cmp_gt_i32_e32 vcc, 0, v4
	v_cndmask_b32_e64 v3, v1, 0, vcc
	v_cmp_gt_i32_e32 vcc, 0, v5
	v_cndmask_b32_e64 v9, v1, 0, vcc
	;; [unrolled: 2-line block ×3, first 2 shown]
	v_cmp_gt_i32_e32 vcc, 0, v7
	v_xor_b32_e32 v3, v3, v4
	v_cndmask_b32_e64 v11, v1, 0, vcc
	v_xor_b32_e32 v4, v9, v5
	v_xor_b32_e32 v5, v10, v6
	v_lshrrev_b32_e32 v3, 19, v3
	v_xor_b32_e32 v6, v11, v7
	v_lshrrev_b32_e32 v4, 19, v4
	v_lshrrev_b32_e32 v5, 19, v5
	v_and_b32_e32 v3, 0x1ffc, v3
	v_lshrrev_b32_e32 v6, 19, v6
	v_and_b32_e32 v4, 0x1ffc, v4
	v_and_b32_e32 v5, 0x1ffc, v5
	ds_add_u32 v3, v2 offset:9088
	ds_add_u32 v4, v2 offset:9088
	;; [unrolled: 1-line block ×3, first 2 shown]
	v_and_b32_e32 v3, 0x1ffc, v6
	ds_add_u32 v3, v2 offset:9088
	v_cmp_le_i32_e32 vcc, s28, v8
	s_or_b64 s[16:17], vcc, s[16:17]
	s_andn2_b64 exec, exec, s[16:17]
	s_cbranch_execnz .LBB8_32
.LBB8_33:
	s_or_b64 exec, exec, s[10:11]
	v_lshlrev_b32_e32 v0, 2, v44
	v_mov_b32_e32 v1, s44
	v_add_co_u32_e32 v18, vcc, s45, v0
	v_cmp_gt_u32_e64 s[10:11], s14, v44
	v_addc_co_u32_e32 v19, vcc, 0, v1, vcc
	s_and_saveexec_b64 s[16:17], s[10:11]
	s_cbranch_execz .LBB8_35
; %bb.34:
	global_load_dword v0, v[18:19], off
	v_mov_b32_e32 v1, 0x7fe00000
	s_waitcnt vmcnt(0)
	v_cmp_gt_i32_e32 vcc, 0, v0
	v_cndmask_b32_e64 v1, v1, 0, vcc
	v_xor_b32_e32 v0, v1, v0
	v_lshrrev_b32_e32 v0, 19, v0
	v_and_b32_e32 v0, 0x1ffc, v0
	v_mov_b32_e32 v1, 1
	ds_add_u32 v0, v1 offset:9088
.LBB8_35:
	s_or_b64 exec, exec, s[16:17]
	s_lshl_b32 s15, s28, 2
	s_add_i32 s15, s15, s14
	v_add_u32_e32 v0, s15, v44
	v_ashrrev_i32_e32 v1, 31, v0
	v_cmp_gt_i32_e64 s[14:15], s13, v0
	v_lshlrev_b64 v[0:1], 2, v[0:1]
	v_mov_b32_e32 v2, s44
	v_add_co_u32_e32 v20, vcc, s45, v0
	v_addc_co_u32_e32 v21, vcc, v2, v1, vcc
	s_and_saveexec_b64 s[16:17], s[14:15]
	s_cbranch_execz .LBB8_37
; %bb.36:
	global_load_dword v0, v[20:21], off
	v_mov_b32_e32 v1, 0x7fe00000
	s_waitcnt vmcnt(0)
	v_cmp_gt_i32_e32 vcc, 0, v0
	v_cndmask_b32_e64 v1, v1, 0, vcc
	v_xor_b32_e32 v0, v1, v0
	v_lshrrev_b32_e32 v0, 19, v0
	v_and_b32_e32 v0, 0x1ffc, v0
	v_mov_b32_e32 v1, 1
	ds_add_u32 v0, v1 offset:9088
.LBB8_37:
	s_or_b64 exec, exec, s[16:17]
	v_lshlrev_b32_e32 v34, 2, v44
	s_mov_b64 s[16:17], src_shared_base
	v_add_u32_e32 v12, 0x2380, v34
	v_mov_b32_e32 v13, s17
	v_add_u32_e32 v14, 0x3380, v34
	v_mov_b32_e32 v15, s17
	s_waitcnt lgkmcnt(0)
	s_barrier
	flat_load_dword v0, v[12:13] glc
	s_waitcnt vmcnt(0)
	flat_load_dword v1, v[14:15] glc
	s_waitcnt vmcnt(0)
	v_lshrrev_b32_e32 v3, 3, v44
	v_or_b32_e32 v4, 0x400, v44
	v_lshlrev_b32_e32 v5, 1, v44
	v_lshrrev_b32_e32 v6, 4, v44
	v_and_b32_e32 v8, 0x7c, v3
	v_lshrrev_b32_e32 v9, 3, v4
	v_add_lshl_u32 v3, v6, v5, 2
	v_add_u32_e32 v4, v34, v8
	v_and_b32_e32 v5, 0xfc, v9
	v_add_u32_e32 v5, v5, v34
	v_lshrrev_b32_e32 v7, 1, v44
	v_mov_b32_e32 v2, 0x280
	v_lshl_add_u32 v6, v44, 4, v7
	v_cmp_gt_u32_e64 s[16:17], 64, v44
	v_lshl_add_u32 v26, v6, 2, v2
	s_waitcnt lgkmcnt(0)
	ds_write_b32 v4, v0 offset:640
	ds_write_b32 v5, v1 offset:4736
	s_waitcnt lgkmcnt(0)
	s_barrier
	ds_read2_b32 v[0:1], v3 offset0:160 offset1:161
	s_waitcnt lgkmcnt(0)
	s_barrier
	v_add_u32_e32 v6, v1, v0
	ds_write_b32 v4, v6 offset:640
	s_waitcnt lgkmcnt(0)
	s_barrier
	s_and_saveexec_b64 s[20:21], s[16:17]
	s_cbranch_execz .LBB8_39
; %bb.38:
	ds_read2_b32 v[8:9], v26 offset1:1
	ds_read2_b32 v[10:11], v26 offset0:2 offset1:3
	ds_read2_b32 v[22:23], v26 offset0:4 offset1:5
	;; [unrolled: 1-line block ×7, first 2 shown]
	s_waitcnt lgkmcnt(7)
	v_add_u32_e32 v7, v9, v8
	s_waitcnt lgkmcnt(6)
	v_add3_u32 v7, v7, v10, v11
	s_waitcnt lgkmcnt(5)
	v_add3_u32 v7, v7, v22, v23
	s_waitcnt lgkmcnt(4)
	v_add3_u32 v7, v7, v24, v25
	s_waitcnt lgkmcnt(3)
	v_add3_u32 v7, v7, v28, v29
	s_waitcnt lgkmcnt(2)
	v_add3_u32 v7, v7, v30, v31
	v_mbcnt_lo_u32_b32 v32, -1, 0
	s_waitcnt lgkmcnt(1)
	v_add3_u32 v7, v7, v36, v37
	v_mbcnt_hi_u32_b32 v32, -1, v32
	s_waitcnt lgkmcnt(0)
	v_add3_u32 v7, v7, v38, v39
	v_and_b32_e32 v35, 15, v32
	v_cmp_ne_u32_e32 vcc, 0, v35
	v_mov_b32_dpp v40, v7 row_shr:1 row_mask:0xf bank_mask:0xf
	v_cndmask_b32_e32 v40, 0, v40, vcc
	v_add_u32_e32 v7, v40, v7
	v_cmp_lt_u32_e32 vcc, 1, v35
	s_nop 0
	v_mov_b32_dpp v40, v7 row_shr:2 row_mask:0xf bank_mask:0xf
	v_cndmask_b32_e32 v40, 0, v40, vcc
	v_add_u32_e32 v7, v7, v40
	v_cmp_lt_u32_e32 vcc, 3, v35
	s_nop 0
	;; [unrolled: 5-line block ×3, first 2 shown]
	v_mov_b32_dpp v40, v7 row_shr:8 row_mask:0xf bank_mask:0xf
	v_cndmask_b32_e32 v35, 0, v40, vcc
	v_add_u32_e32 v7, v7, v35
	v_bfe_i32 v40, v32, 4, 1
	v_cmp_lt_u32_e32 vcc, 31, v32
	v_mov_b32_dpp v35, v7 row_bcast:15 row_mask:0xf bank_mask:0xf
	v_and_b32_e32 v35, v40, v35
	v_add_u32_e32 v7, v7, v35
	v_and_b32_e32 v40, 64, v32
	s_nop 0
	v_mov_b32_dpp v35, v7 row_bcast:31 row_mask:0xf bank_mask:0xf
	v_cndmask_b32_e32 v35, 0, v35, vcc
	v_add_u32_e32 v7, v7, v35
	v_add_u32_e32 v35, -1, v32
	v_cmp_lt_i32_e32 vcc, v35, v40
	v_cndmask_b32_e32 v32, v35, v32, vcc
	v_lshlrev_b32_e32 v32, 2, v32
	ds_bpermute_b32 v7, v32, v7
	s_waitcnt lgkmcnt(0)
	v_add_u32_e32 v7, v7, v8
	v_cndmask_b32_e64 v6, v7, v6, s[6:7]
	v_add_u32_e32 v7, v6, v9
	ds_write2_b32 v26, v6, v7 offset1:1
	v_add_u32_e32 v6, v7, v10
	v_add_u32_e32 v7, v6, v11
	ds_write2_b32 v26, v6, v7 offset0:2 offset1:3
	v_add_u32_e32 v6, v7, v22
	v_add_u32_e32 v7, v6, v23
	ds_write2_b32 v26, v6, v7 offset0:4 offset1:5
	;; [unrolled: 3-line block ×7, first 2 shown]
.LBB8_39:
	s_or_b64 exec, exec, s[20:21]
	v_add_u32_e32 v31, 0x280, v3
	v_add_u32_e32 v3, -1, v44
	v_add_u32_e32 v29, 0x280, v4
	v_lshrrev_b32_e32 v4, 5, v3
	v_add_u32_e32 v3, v4, v3
	v_add_u32_e32 v30, 0x280, v5
	v_lshl_add_u32 v32, v3, 2, v2
	v_mov_b32_e32 v2, 0
	v_mov_b32_e32 v3, 0
	s_waitcnt lgkmcnt(0)
	s_barrier
	s_and_saveexec_b64 s[20:21], s[8:9]
	s_cbranch_execz .LBB8_41
; %bb.40:
	ds_read_b32 v3, v32
.LBB8_41:
	s_or_b64 exec, exec, s[20:21]
	s_waitcnt lgkmcnt(0)
	v_add_u32_e32 v0, v3, v0
	v_add_u32_e32 v1, v0, v1
	s_barrier
	ds_write2_b32 v31, v0, v1 offset1:1
	s_waitcnt lgkmcnt(0)
	s_barrier
	ds_read_b32 v0, v29
	ds_read_b32 v1, v30 offset:4096
	s_waitcnt lgkmcnt(1)
	flat_store_dword v[12:13], v0
	s_waitcnt vmcnt(0) lgkmcnt(0)
	flat_store_dword v[14:15], v1
	s_waitcnt vmcnt(0) lgkmcnt(0)
	s_barrier
	ds_read_b32 v0, v2 offset:12
	v_add_u32_e32 v28, 0x237c, v34
	v_lshlrev_b32_e32 v1, 21, v44
	s_lshl_b32 s40, s43, 21
	s_mov_b64 s[34:35], 0
	s_movk_i32 s41, 0x7ff
	v_mov_b32_e32 v3, v28
	v_mov_b32_e32 v4, v44
	s_branch .LBB8_43
.LBB8_42:                               ;   in Loop: Header=BB8_43 Depth=1
	s_or_b64 exec, exec, s[20:21]
	v_add_u32_e32 v4, s43, v4
	v_cmp_lt_u32_e32 vcc, s41, v4
	v_add_u32_e32 v3, s46, v3
	s_or_b64 s[34:35], vcc, s[34:35]
	v_add_u32_e32 v1, s40, v1
	s_andn2_b64 exec, exec, s[34:35]
	s_cbranch_execz .LBB8_47
.LBB8_43:                               ; =>This Inner Loop Header: Depth=1
	v_cmp_ne_u32_e32 vcc, 0, v4
	v_mov_b32_e32 v5, 0
	s_and_saveexec_b64 s[20:21], vcc
	s_cbranch_execz .LBB8_45
; %bb.44:                               ;   in Loop: Header=BB8_43 Depth=1
	ds_read_b32 v5, v3
.LBB8_45:                               ;   in Loop: Header=BB8_43 Depth=1
	s_or_b64 exec, exec, s[20:21]
	ds_read_b32 v6, v3 offset:4
	s_waitcnt lgkmcnt(1)
	v_cmp_gt_i32_e32 vcc, s42, v5
	s_waitcnt lgkmcnt(0)
	v_cmp_le_i32_e64 s[20:21], s42, v6
	s_and_b64 s[54:55], vcc, s[20:21]
	s_and_saveexec_b64 s[20:21], s[54:55]
	s_cbranch_execz .LBB8_42
; %bb.46:                               ;   in Loop: Header=BB8_43 Depth=1
	v_sub_u32_e32 v7, v6, v5
	v_sub_u32_e32 v6, s42, v5
	v_or_b32_e32 v0, v0, v1
	ds_write_b64 v2, v[6:7]
	ds_write_b32 v2, v0 offset:12
	s_branch .LBB8_42
.LBB8_47:
	s_or_b64 exec, exec, s[34:35]
	s_and_saveexec_b64 s[20:21], s[6:7]
	s_cbranch_execz .LBB8_49
; %bb.48:
	v_mov_b32_e32 v0, 0
	ds_read_b32 v1, v0 offset:4
	s_waitcnt lgkmcnt(0)
	ds_write_b32 v0, v1 offset:8
.LBB8_49:
	s_or_b64 exec, exec, s[20:21]
	v_mov_b32_e32 v0, 0
	s_waitcnt lgkmcnt(0)
	s_barrier
	ds_read_b64 v[22:23], v0
	s_mov_b32 s20, 0
	s_waitcnt lgkmcnt(0)
	v_cmp_eq_u32_e32 vcc, v23, v22
	s_cbranch_vccnz .LBB8_214
; %bb.50:
	s_mov_b64 s[34:35], -1
	v_mov_b32_e32 v0, v44
	v_mov_b32_e32 v1, v34
	s_and_saveexec_b64 s[20:21], s[30:31]
	s_cbranch_execz .LBB8_61
; %bb.51:
	v_add_u32_e32 v1, -1, v33
	v_lshrrev_b32_e32 v0, 1, v1
	v_add_u32_e32 v0, 1, v0
	v_cmp_lt_u32_e32 vcc, 13, v1
	v_mov_b32_e32 v4, 0
	s_and_saveexec_b64 s[34:35], vcc
	s_cbranch_execz .LBB8_55
; %bb.52:
	v_and_b32_e32 v1, -8, v0
	v_add_u32_e32 v2, 0x2380, v34
	s_mov_b32 s54, 0
	s_mov_b64 s[40:41], 0
	v_mov_b32_e32 v3, 0
.LBB8_53:                               ; =>This Inner Loop Header: Depth=1
	v_add_u32_e32 v1, -8, v1
	s_add_i32 s54, s54, 16
	v_cmp_eq_u32_e32 vcc, 0, v1
	ds_write2_b32 v2, v3, v3 offset1:1
	ds_write2_b32 v2, v3, v3 offset0:2 offset1:3
	ds_write2_b32 v2, v3, v3 offset0:4 offset1:5
	;; [unrolled: 1-line block ×7, first 2 shown]
	v_add_u32_e32 v2, 64, v2
	s_or_b64 s[40:41], vcc, s[40:41]
	v_mov_b32_e32 v4, s54
	s_andn2_b64 exec, exec, s[40:41]
	s_cbranch_execnz .LBB8_53
; %bb.54:
	s_or_b64 exec, exec, s[40:41]
.LBB8_55:
	s_or_b64 exec, exec, s[34:35]
	v_and_b32_e32 v0, 7, v0
	v_cmp_ne_u32_e32 vcc, 0, v0
	s_and_saveexec_b64 s[34:35], vcc
	s_cbranch_execz .LBB8_58
; %bb.56:
	v_lshlrev_b32_e32 v1, 2, v4
	s_movk_i32 s40, 0x2380
	v_add3_u32 v1, v1, v34, s40
	s_mov_b64 s[40:41], 0
	v_mov_b32_e32 v2, 0
.LBB8_57:                               ; =>This Inner Loop Header: Depth=1
	v_add_u32_e32 v0, -1, v0
	v_cmp_eq_u32_e32 vcc, 0, v0
	ds_write2_b32 v1, v2, v2 offset1:1
	s_or_b64 s[40:41], vcc, s[40:41]
	v_add_u32_e32 v1, 8, v1
	s_andn2_b64 exec, exec, s[40:41]
	s_cbranch_execnz .LBB8_57
.LBB8_58:
	s_or_b64 exec, exec, s[34:35]
	v_and_b32_e32 v2, -2, v27
	v_cmp_ne_u32_e32 vcc, v27, v2
	s_mov_b64 s[34:35], 0
                                        ; implicit-def: $vgpr0
                                        ; implicit-def: $vgpr1
	s_and_saveexec_b64 s[40:41], vcc
; %bb.59:
	v_add_u32_e32 v0, v44, v2
	s_mov_b64 s[34:35], exec
	v_lshlrev_b32_e32 v1, 2, v0
; %bb.60:
	s_or_b64 exec, exec, s[40:41]
	s_orn2_b64 s[34:35], s[34:35], exec
.LBB8_61:
	s_or_b64 exec, exec, s[20:21]
	s_and_saveexec_b64 s[20:21], s[34:35]
	s_cbranch_execz .LBB8_64
; %bb.62:
	v_add_u32_e32 v1, 0x2380, v1
	s_mov_b64 s[34:35], 0
	v_mov_b32_e32 v2, 0
	s_movk_i32 s40, 0x7ff
.LBB8_63:                               ; =>This Inner Loop Header: Depth=1
	v_add_u32_e32 v0, s43, v0
	v_cmp_lt_u32_e32 vcc, s40, v0
	ds_write_b32 v1, v2
	s_or_b64 s[34:35], vcc, s[34:35]
	v_add_u32_e32 v1, s46, v1
	s_andn2_b64 exec, exec, s[34:35]
	s_cbranch_execnz .LBB8_63
.LBB8_64:
	s_or_b64 exec, exec, s[20:21]
	s_and_saveexec_b64 s[20:21], s[6:7]
	s_cbranch_execz .LBB8_66
; %bb.65:
	v_mov_b32_e32 v0, 0
	ds_write_b32 v0, v0 offset:128
.LBB8_66:
	s_or_b64 exec, exec, s[20:21]
	v_mov_b32_e32 v0, 0
	s_waitcnt lgkmcnt(0)
	s_barrier
	ds_read_b32 v23, v0 offset:12
	v_mov_b32_e32 v24, v44
	s_and_saveexec_b64 s[20:21], s[18:19]
	s_cbranch_execz .LBB8_102
; %bb.67:
	s_mov_b64 s[34:35], 0
	v_mov_b32_e32 v35, s48
	v_mov_b32_e32 v36, s52
	v_bfrev_b32_e32 v37, -2
	v_mov_b32_e32 v38, 1
	v_mov_b32_e32 v39, s53
	v_pk_mov_b32 v[8:9], v[16:17], v[16:17] op_sel:[0,1]
	v_pk_mov_b32 v[24:25], v[44:45], v[44:45] op_sel:[0,1]
	s_branch .LBB8_69
.LBB8_68:                               ;   in Loop: Header=BB8_69 Depth=1
	s_or_b64 exec, exec, s[40:41]
	v_add_u32_e32 v24, s46, v24
	v_ashrrev_i32_e32 v25, 31, v24
	v_add_co_u32_e32 v8, vcc, s49, v24
	v_addc_co_u32_e32 v9, vcc, 0, v25, vcc
	v_cmp_le_u64_e32 vcc, s[28:29], v[8:9]
	s_or_b64 s[34:35], vcc, s[34:35]
	s_andn2_b64 exec, exec, s[34:35]
	s_cbranch_execz .LBB8_101
.LBB8_69:                               ; =>This Inner Loop Header: Depth=1
	v_lshlrev_b64 v[10:11], 4, v[24:25]
	v_add_co_u32_e32 v0, vcc, s47, v10
	v_addc_co_u32_e32 v1, vcc, v35, v11, vcc
	global_load_dwordx4 v[0:3], v[0:1], off
	v_add_co_u32_e32 v4, vcc, s50, v10
	v_addc_co_u32_e32 v5, vcc, v36, v11, vcc
	global_load_dwordx4 v[4:7], v[4:5], off
	s_waitcnt vmcnt(1)
	v_cmp_gt_i32_e32 vcc, 0, v0
	v_cndmask_b32_e64 v25, v37, 0, vcc
	v_xor_b32_e32 v0, v25, v0
	v_and_b32_e32 v25, 0xffe00000, v0
	s_waitcnt lgkmcnt(0)
	v_cmp_eq_u32_e32 vcc, v25, v23
	s_and_saveexec_b64 s[40:41], vcc
	s_cbranch_execz .LBB8_71
; %bb.70:                               ;   in Loop: Header=BB8_69 Depth=1
	v_lshrrev_b32_e32 v0, 8, v0
	v_and_b32_e32 v0, 0x1ffc, v0
	ds_add_u32 v0, v38 offset:9088
.LBB8_71:                               ;   in Loop: Header=BB8_69 Depth=1
	s_or_b64 exec, exec, s[40:41]
	v_cmp_gt_i32_e32 vcc, 0, v1
	v_cndmask_b32_e64 v0, v37, 0, vcc
	v_xor_b32_e32 v0, v0, v1
	v_and_b32_e32 v1, 0xffe00000, v0
	v_cmp_eq_u32_e32 vcc, v1, v23
	s_and_saveexec_b64 s[40:41], vcc
	s_cbranch_execz .LBB8_73
; %bb.72:                               ;   in Loop: Header=BB8_69 Depth=1
	v_lshrrev_b32_e32 v0, 8, v0
	v_and_b32_e32 v0, 0x1ffc, v0
	ds_add_u32 v0, v38 offset:9088
.LBB8_73:                               ;   in Loop: Header=BB8_69 Depth=1
	s_or_b64 exec, exec, s[40:41]
	v_cmp_gt_i32_e32 vcc, 0, v2
	v_cndmask_b32_e64 v0, v37, 0, vcc
	v_xor_b32_e32 v0, v0, v2
	v_and_b32_e32 v1, 0xffe00000, v0
	;; [unrolled: 13-line block ×3, first 2 shown]
	v_cmp_eq_u32_e32 vcc, v1, v23
	s_and_saveexec_b64 s[40:41], vcc
	s_cbranch_execz .LBB8_77
; %bb.76:                               ;   in Loop: Header=BB8_69 Depth=1
	v_lshrrev_b32_e32 v0, 8, v0
	v_and_b32_e32 v0, 0x1ffc, v0
	ds_add_u32 v0, v38 offset:9088
.LBB8_77:                               ;   in Loop: Header=BB8_69 Depth=1
	s_or_b64 exec, exec, s[40:41]
	v_add_co_u32_e32 v40, vcc, s51, v10
	v_addc_co_u32_e32 v41, vcc, v39, v11, vcc
	v_lshlrev_b64 v[0:1], 4, v[8:9]
	v_add_co_u32_e32 v42, vcc, s47, v0
	v_addc_co_u32_e32 v43, vcc, v35, v1, vcc
	global_load_dwordx4 v[8:11], v[40:41], off
	global_load_dwordx4 v[0:3], v[42:43], off
	s_waitcnt vmcnt(2)
	v_cmp_gt_i32_e32 vcc, 0, v4
	v_cndmask_b32_e64 v25, v37, 0, vcc
	v_xor_b32_e32 v4, v25, v4
	v_and_b32_e32 v25, 0xffe00000, v4
	v_cmp_eq_u32_e32 vcc, v25, v23
	s_and_saveexec_b64 s[40:41], vcc
	s_cbranch_execz .LBB8_79
; %bb.78:                               ;   in Loop: Header=BB8_69 Depth=1
	v_lshrrev_b32_e32 v4, 8, v4
	v_and_b32_e32 v4, 0x1ffc, v4
	ds_add_u32 v4, v38 offset:9088
.LBB8_79:                               ;   in Loop: Header=BB8_69 Depth=1
	s_or_b64 exec, exec, s[40:41]
	v_cmp_gt_i32_e32 vcc, 0, v5
	v_cndmask_b32_e64 v4, v37, 0, vcc
	v_xor_b32_e32 v4, v4, v5
	v_and_b32_e32 v5, 0xffe00000, v4
	v_cmp_eq_u32_e32 vcc, v5, v23
	s_and_saveexec_b64 s[40:41], vcc
	s_cbranch_execz .LBB8_81
; %bb.80:                               ;   in Loop: Header=BB8_69 Depth=1
	v_lshrrev_b32_e32 v4, 8, v4
	v_and_b32_e32 v4, 0x1ffc, v4
	ds_add_u32 v4, v38 offset:9088
.LBB8_81:                               ;   in Loop: Header=BB8_69 Depth=1
	s_or_b64 exec, exec, s[40:41]
	;; [unrolled: 13-line block ×4, first 2 shown]
	s_waitcnt vmcnt(1)
	v_cmp_gt_i32_e32 vcc, 0, v8
	v_cndmask_b32_e64 v4, v37, 0, vcc
	v_xor_b32_e32 v4, v4, v8
	v_and_b32_e32 v5, 0xffe00000, v4
	v_cmp_eq_u32_e32 vcc, v5, v23
	s_and_saveexec_b64 s[40:41], vcc
	s_cbranch_execz .LBB8_87
; %bb.86:                               ;   in Loop: Header=BB8_69 Depth=1
	v_lshrrev_b32_e32 v4, 8, v4
	v_and_b32_e32 v4, 0x1ffc, v4
	ds_add_u32 v4, v38 offset:9088
.LBB8_87:                               ;   in Loop: Header=BB8_69 Depth=1
	s_or_b64 exec, exec, s[40:41]
	v_cmp_gt_i32_e32 vcc, 0, v9
	v_cndmask_b32_e64 v4, v37, 0, vcc
	v_xor_b32_e32 v4, v4, v9
	v_and_b32_e32 v5, 0xffe00000, v4
	v_cmp_eq_u32_e32 vcc, v5, v23
	s_and_saveexec_b64 s[40:41], vcc
	s_cbranch_execz .LBB8_89
; %bb.88:                               ;   in Loop: Header=BB8_69 Depth=1
	v_lshrrev_b32_e32 v4, 8, v4
	v_and_b32_e32 v4, 0x1ffc, v4
	ds_add_u32 v4, v38 offset:9088
.LBB8_89:                               ;   in Loop: Header=BB8_69 Depth=1
	s_or_b64 exec, exec, s[40:41]
	;; [unrolled: 13-line block ×4, first 2 shown]
	s_waitcnt vmcnt(0)
	v_cmp_gt_i32_e32 vcc, 0, v0
	v_cndmask_b32_e64 v4, v37, 0, vcc
	v_xor_b32_e32 v0, v4, v0
	v_and_b32_e32 v4, 0xffe00000, v0
	v_cmp_eq_u32_e32 vcc, v4, v23
	s_and_saveexec_b64 s[40:41], vcc
	s_cbranch_execz .LBB8_95
; %bb.94:                               ;   in Loop: Header=BB8_69 Depth=1
	v_lshrrev_b32_e32 v0, 8, v0
	v_and_b32_e32 v0, 0x1ffc, v0
	ds_add_u32 v0, v38 offset:9088
.LBB8_95:                               ;   in Loop: Header=BB8_69 Depth=1
	s_or_b64 exec, exec, s[40:41]
	v_cmp_gt_i32_e32 vcc, 0, v1
	v_cndmask_b32_e64 v0, v37, 0, vcc
	v_xor_b32_e32 v0, v0, v1
	v_and_b32_e32 v1, 0xffe00000, v0
	v_cmp_eq_u32_e32 vcc, v1, v23
	s_and_saveexec_b64 s[40:41], vcc
	s_cbranch_execz .LBB8_97
; %bb.96:                               ;   in Loop: Header=BB8_69 Depth=1
	v_lshrrev_b32_e32 v0, 8, v0
	v_and_b32_e32 v0, 0x1ffc, v0
	ds_add_u32 v0, v38 offset:9088
.LBB8_97:                               ;   in Loop: Header=BB8_69 Depth=1
	s_or_b64 exec, exec, s[40:41]
	;; [unrolled: 13-line block ×3, first 2 shown]
	v_cmp_gt_i32_e32 vcc, 0, v3
	v_cndmask_b32_e64 v0, v37, 0, vcc
	v_xor_b32_e32 v0, v0, v3
	v_and_b32_e32 v1, 0xffe00000, v0
	v_cmp_eq_u32_e32 vcc, v1, v23
	s_and_saveexec_b64 s[40:41], vcc
	s_cbranch_execz .LBB8_68
; %bb.100:                              ;   in Loop: Header=BB8_69 Depth=1
	v_lshrrev_b32_e32 v0, 8, v0
	v_and_b32_e32 v0, 0x1ffc, v0
	ds_add_u32 v0, v38 offset:9088
	s_branch .LBB8_68
.LBB8_101:
	s_or_b64 exec, exec, s[34:35]
.LBB8_102:
	s_or_b64 exec, exec, s[20:21]
	v_cmp_gt_i32_e32 vcc, s28, v24
	s_and_saveexec_b64 s[20:21], vcc
	s_cbranch_execz .LBB8_113
; %bb.103:
	s_mov_b64 s[34:35], 0
	v_mov_b32_e32 v4, s48
	v_bfrev_b32_e32 v5, -2
	v_mov_b32_e32 v6, 1
	s_branch .LBB8_105
.LBB8_104:                              ;   in Loop: Header=BB8_105 Depth=1
	s_or_b64 exec, exec, s[40:41]
	v_add_u32_e32 v24, s43, v24
	v_cmp_le_i32_e32 vcc, s28, v24
	s_or_b64 s[34:35], vcc, s[34:35]
	s_andn2_b64 exec, exec, s[34:35]
	s_cbranch_execz .LBB8_113
.LBB8_105:                              ; =>This Inner Loop Header: Depth=1
	v_ashrrev_i32_e32 v25, 31, v24
	v_lshlrev_b64 v[0:1], 4, v[24:25]
	v_add_co_u32_e32 v0, vcc, s47, v0
	v_addc_co_u32_e32 v1, vcc, v4, v1, vcc
	global_load_dwordx4 v[0:3], v[0:1], off
	s_waitcnt vmcnt(0)
	v_cmp_gt_i32_e32 vcc, 0, v0
	v_cndmask_b32_e64 v7, v5, 0, vcc
	v_xor_b32_e32 v0, v7, v0
	v_and_b32_e32 v7, 0xffe00000, v0
	s_waitcnt lgkmcnt(0)
	v_cmp_eq_u32_e32 vcc, v7, v23
	s_and_saveexec_b64 s[40:41], vcc
	s_cbranch_execz .LBB8_107
; %bb.106:                              ;   in Loop: Header=BB8_105 Depth=1
	v_lshrrev_b32_e32 v0, 8, v0
	v_and_b32_e32 v0, 0x1ffc, v0
	ds_add_u32 v0, v6 offset:9088
.LBB8_107:                              ;   in Loop: Header=BB8_105 Depth=1
	s_or_b64 exec, exec, s[40:41]
	v_cmp_gt_i32_e32 vcc, 0, v1
	v_cndmask_b32_e64 v0, v5, 0, vcc
	v_xor_b32_e32 v0, v0, v1
	v_and_b32_e32 v1, 0xffe00000, v0
	v_cmp_eq_u32_e32 vcc, v1, v23
	s_and_saveexec_b64 s[40:41], vcc
	s_cbranch_execz .LBB8_109
; %bb.108:                              ;   in Loop: Header=BB8_105 Depth=1
	v_lshrrev_b32_e32 v0, 8, v0
	v_and_b32_e32 v0, 0x1ffc, v0
	ds_add_u32 v0, v6 offset:9088
.LBB8_109:                              ;   in Loop: Header=BB8_105 Depth=1
	s_or_b64 exec, exec, s[40:41]
	v_cmp_gt_i32_e32 vcc, 0, v2
	v_cndmask_b32_e64 v0, v5, 0, vcc
	v_xor_b32_e32 v0, v0, v2
	v_and_b32_e32 v1, 0xffe00000, v0
	;; [unrolled: 13-line block ×3, first 2 shown]
	v_cmp_eq_u32_e32 vcc, v1, v23
	s_and_saveexec_b64 s[40:41], vcc
	s_cbranch_execz .LBB8_104
; %bb.112:                              ;   in Loop: Header=BB8_105 Depth=1
	v_lshrrev_b32_e32 v0, 8, v0
	v_and_b32_e32 v0, 0x1ffc, v0
	ds_add_u32 v0, v6 offset:9088
	s_branch .LBB8_104
.LBB8_113:
	s_or_b64 exec, exec, s[20:21]
	s_and_saveexec_b64 s[20:21], s[10:11]
	s_cbranch_execz .LBB8_116
; %bb.114:
	global_load_dword v0, v[18:19], off
	v_bfrev_b32_e32 v1, -2
	s_waitcnt vmcnt(0)
	v_cmp_gt_i32_e32 vcc, 0, v0
	v_cndmask_b32_e64 v1, v1, 0, vcc
	v_xor_b32_e32 v0, v1, v0
	v_and_b32_e32 v1, 0xffe00000, v0
	s_waitcnt lgkmcnt(0)
	v_cmp_eq_u32_e32 vcc, v1, v23
	s_and_b64 exec, exec, vcc
	s_cbranch_execz .LBB8_116
; %bb.115:
	v_lshrrev_b32_e32 v0, 8, v0
	v_and_b32_e32 v0, 0x1ffc, v0
	v_mov_b32_e32 v1, 1
	ds_add_u32 v0, v1 offset:9088
.LBB8_116:
	s_or_b64 exec, exec, s[20:21]
	s_and_saveexec_b64 s[20:21], s[14:15]
	s_cbranch_execz .LBB8_119
; %bb.117:
	global_load_dword v0, v[20:21], off
	v_bfrev_b32_e32 v1, -2
	s_waitcnt vmcnt(0)
	v_cmp_gt_i32_e32 vcc, 0, v0
	v_cndmask_b32_e64 v1, v1, 0, vcc
	v_xor_b32_e32 v0, v1, v0
	v_and_b32_e32 v1, 0xffe00000, v0
	s_waitcnt lgkmcnt(0)
	v_cmp_eq_u32_e32 vcc, v1, v23
	s_and_b64 exec, exec, vcc
	s_cbranch_execz .LBB8_119
; %bb.118:
	v_lshrrev_b32_e32 v0, 8, v0
	v_and_b32_e32 v0, 0x1ffc, v0
	v_mov_b32_e32 v1, 1
	ds_add_u32 v0, v1 offset:9088
.LBB8_119:
	s_or_b64 exec, exec, s[20:21]
	s_waitcnt lgkmcnt(0)
	s_barrier
	flat_load_dword v0, v[12:13] glc
	s_waitcnt vmcnt(0)
	flat_load_dword v1, v[14:15] glc
	s_waitcnt vmcnt(0) lgkmcnt(0)
	ds_write_b32 v29, v0
	ds_write_b32 v30, v1 offset:4096
	s_waitcnt lgkmcnt(0)
	s_barrier
	ds_read2_b32 v[0:1], v31 offset1:1
	s_waitcnt lgkmcnt(0)
	s_barrier
	v_add_u32_e32 v2, v1, v0
	ds_write_b32 v29, v2
	s_waitcnt lgkmcnt(0)
	s_barrier
	s_and_saveexec_b64 s[20:21], s[16:17]
	s_cbranch_execz .LBB8_121
; %bb.120:
	ds_read2_b32 v[4:5], v26 offset1:1
	ds_read2_b32 v[6:7], v26 offset0:2 offset1:3
	ds_read2_b32 v[8:9], v26 offset0:4 offset1:5
	;; [unrolled: 1-line block ×7, first 2 shown]
	s_waitcnt lgkmcnt(7)
	v_add_u32_e32 v3, v5, v4
	s_waitcnt lgkmcnt(6)
	v_add3_u32 v3, v3, v6, v7
	s_waitcnt lgkmcnt(5)
	v_add3_u32 v3, v3, v8, v9
	;; [unrolled: 2-line block ×5, first 2 shown]
	v_mbcnt_lo_u32_b32 v23, -1, 0
	s_waitcnt lgkmcnt(1)
	v_add3_u32 v3, v3, v38, v39
	v_mbcnt_hi_u32_b32 v23, -1, v23
	s_waitcnt lgkmcnt(0)
	v_add3_u32 v3, v3, v40, v41
	v_and_b32_e32 v35, 15, v23
	v_cmp_ne_u32_e32 vcc, 0, v35
	v_mov_b32_dpp v42, v3 row_shr:1 row_mask:0xf bank_mask:0xf
	v_cndmask_b32_e32 v42, 0, v42, vcc
	v_add_u32_e32 v3, v42, v3
	v_cmp_lt_u32_e32 vcc, 1, v35
	s_nop 0
	v_mov_b32_dpp v42, v3 row_shr:2 row_mask:0xf bank_mask:0xf
	v_cndmask_b32_e32 v42, 0, v42, vcc
	v_add_u32_e32 v3, v3, v42
	v_cmp_lt_u32_e32 vcc, 3, v35
	s_nop 0
	;; [unrolled: 5-line block ×3, first 2 shown]
	v_mov_b32_dpp v42, v3 row_shr:8 row_mask:0xf bank_mask:0xf
	v_cndmask_b32_e32 v35, 0, v42, vcc
	v_add_u32_e32 v3, v3, v35
	v_bfe_i32 v42, v23, 4, 1
	v_cmp_lt_u32_e32 vcc, 31, v23
	v_mov_b32_dpp v35, v3 row_bcast:15 row_mask:0xf bank_mask:0xf
	v_and_b32_e32 v35, v42, v35
	v_add_u32_e32 v3, v3, v35
	v_and_b32_e32 v42, 64, v23
	s_nop 0
	v_mov_b32_dpp v35, v3 row_bcast:31 row_mask:0xf bank_mask:0xf
	v_cndmask_b32_e32 v35, 0, v35, vcc
	v_add_u32_e32 v3, v3, v35
	v_add_u32_e32 v35, -1, v23
	v_cmp_lt_i32_e32 vcc, v35, v42
	v_cndmask_b32_e32 v23, v35, v23, vcc
	v_lshlrev_b32_e32 v23, 2, v23
	ds_bpermute_b32 v3, v23, v3
	s_waitcnt lgkmcnt(0)
	v_add_u32_e32 v3, v3, v4
	v_cndmask_b32_e64 v2, v3, v2, s[6:7]
	v_add_u32_e32 v3, v2, v5
	ds_write2_b32 v26, v2, v3 offset1:1
	v_add_u32_e32 v2, v3, v6
	v_add_u32_e32 v3, v2, v7
	ds_write2_b32 v26, v2, v3 offset0:2 offset1:3
	v_add_u32_e32 v2, v3, v8
	v_add_u32_e32 v3, v2, v9
	ds_write2_b32 v26, v2, v3 offset0:4 offset1:5
	;; [unrolled: 3-line block ×7, first 2 shown]
.LBB8_121:
	s_or_b64 exec, exec, s[20:21]
	v_mov_b32_e32 v2, 0
	v_mov_b32_e32 v3, 0
	s_waitcnt lgkmcnt(0)
	s_barrier
	s_and_saveexec_b64 s[20:21], s[8:9]
	s_cbranch_execz .LBB8_123
; %bb.122:
	ds_read_b32 v3, v32
.LBB8_123:
	s_or_b64 exec, exec, s[20:21]
	s_waitcnt lgkmcnt(0)
	v_add_u32_e32 v0, v3, v0
	v_add_u32_e32 v1, v0, v1
	s_barrier
	ds_write2_b32 v31, v0, v1 offset1:1
	s_waitcnt lgkmcnt(0)
	s_barrier
	ds_read_b32 v0, v29
	ds_read_b32 v1, v30 offset:4096
	s_waitcnt lgkmcnt(1)
	flat_store_dword v[12:13], v0
	s_waitcnt vmcnt(0) lgkmcnt(0)
	flat_store_dword v[14:15], v1
	s_waitcnt vmcnt(0) lgkmcnt(0)
	s_barrier
	ds_read_b32 v0, v2 offset:12
	v_lshlrev_b32_e32 v1, 10, v44
	s_lshl_b32 s40, s43, 10
	s_mov_b64 s[34:35], 0
	s_movk_i32 s41, 0x7ff
	v_mov_b32_e32 v3, v28
	v_mov_b32_e32 v4, v44
	s_branch .LBB8_125
.LBB8_124:                              ;   in Loop: Header=BB8_125 Depth=1
	s_or_b64 exec, exec, s[20:21]
	v_add_u32_e32 v4, s43, v4
	v_cmp_lt_u32_e32 vcc, s41, v4
	v_add_u32_e32 v1, s40, v1
	s_or_b64 s[34:35], vcc, s[34:35]
	v_add_u32_e32 v3, s46, v3
	s_andn2_b64 exec, exec, s[34:35]
	s_cbranch_execz .LBB8_129
.LBB8_125:                              ; =>This Inner Loop Header: Depth=1
	v_cmp_ne_u32_e32 vcc, 0, v4
	v_mov_b32_e32 v5, 0
	s_and_saveexec_b64 s[20:21], vcc
	s_cbranch_execz .LBB8_127
; %bb.126:                              ;   in Loop: Header=BB8_125 Depth=1
	ds_read_b32 v5, v3
.LBB8_127:                              ;   in Loop: Header=BB8_125 Depth=1
	s_or_b64 exec, exec, s[20:21]
	ds_read_b32 v6, v3 offset:4
	s_waitcnt lgkmcnt(1)
	v_cmp_lt_i32_e32 vcc, v5, v22
	s_waitcnt lgkmcnt(0)
	v_cmp_ge_i32_e64 s[20:21], v6, v22
	s_and_b64 s[54:55], vcc, s[20:21]
	s_and_saveexec_b64 s[20:21], s[54:55]
	s_cbranch_execz .LBB8_124
; %bb.128:                              ;   in Loop: Header=BB8_125 Depth=1
	v_sub_u32_e32 v7, v6, v5
	v_sub_u32_e32 v6, v22, v5
	v_or_b32_e32 v0, v0, v1
	ds_write_b64 v2, v[6:7]
	ds_write_b32 v2, v0 offset:12
	s_branch .LBB8_124
.LBB8_129:
	s_or_b64 exec, exec, s[34:35]
	s_and_saveexec_b64 s[20:21], s[6:7]
	s_cbranch_execz .LBB8_131
; %bb.130:
	v_mov_b32_e32 v0, 0
	ds_read_b32 v1, v0 offset:4
	s_waitcnt lgkmcnt(0)
	ds_write_b32 v0, v1 offset:8
.LBB8_131:
	s_or_b64 exec, exec, s[20:21]
	v_mov_b32_e32 v0, 0
	s_waitcnt lgkmcnt(0)
	s_barrier
	ds_read_b64 v[22:23], v0
	s_mov_b32 s20, 1
	s_waitcnt lgkmcnt(0)
	v_cmp_eq_u32_e32 vcc, v23, v22
	s_cbranch_vccnz .LBB8_214
; %bb.132:
	s_mov_b64 s[34:35], -1
	v_mov_b32_e32 v0, v44
	s_and_saveexec_b64 s[20:21], s[30:31]
	s_cbranch_execz .LBB8_143
; %bb.133:
	v_add_u32_e32 v1, -1, v33
	v_lshrrev_b32_e32 v0, 1, v1
	v_add_u32_e32 v0, 1, v0
	v_cmp_lt_u32_e32 vcc, 13, v1
	v_mov_b32_e32 v4, 0
	s_and_saveexec_b64 s[30:31], vcc
	s_cbranch_execz .LBB8_137
; %bb.134:
	v_and_b32_e32 v1, -8, v0
	v_add_u32_e32 v2, 0x2380, v34
	s_mov_b32 s40, 0
	s_mov_b64 s[34:35], 0
	v_mov_b32_e32 v3, 0
.LBB8_135:                              ; =>This Inner Loop Header: Depth=1
	v_add_u32_e32 v1, -8, v1
	s_add_i32 s40, s40, 16
	v_cmp_eq_u32_e32 vcc, 0, v1
	ds_write2_b32 v2, v3, v3 offset1:1
	ds_write2_b32 v2, v3, v3 offset0:2 offset1:3
	ds_write2_b32 v2, v3, v3 offset0:4 offset1:5
	ds_write2_b32 v2, v3, v3 offset0:6 offset1:7
	ds_write2_b32 v2, v3, v3 offset0:8 offset1:9
	ds_write2_b32 v2, v3, v3 offset0:10 offset1:11
	ds_write2_b32 v2, v3, v3 offset0:12 offset1:13
	ds_write2_b32 v2, v3, v3 offset0:14 offset1:15
	v_add_u32_e32 v2, 64, v2
	s_or_b64 s[34:35], vcc, s[34:35]
	v_mov_b32_e32 v4, s40
	s_andn2_b64 exec, exec, s[34:35]
	s_cbranch_execnz .LBB8_135
; %bb.136:
	s_or_b64 exec, exec, s[34:35]
.LBB8_137:
	s_or_b64 exec, exec, s[30:31]
	v_and_b32_e32 v0, 7, v0
	v_cmp_ne_u32_e32 vcc, 0, v0
	s_and_saveexec_b64 s[30:31], vcc
	s_cbranch_execz .LBB8_140
; %bb.138:
	v_lshlrev_b32_e32 v1, 2, v4
	s_movk_i32 s34, 0x2380
	v_add3_u32 v1, v1, v34, s34
	s_mov_b64 s[34:35], 0
	v_mov_b32_e32 v2, 0
.LBB8_139:                              ; =>This Inner Loop Header: Depth=1
	v_add_u32_e32 v0, -1, v0
	v_cmp_eq_u32_e32 vcc, 0, v0
	ds_write2_b32 v1, v2, v2 offset1:1
	s_or_b64 s[34:35], vcc, s[34:35]
	v_add_u32_e32 v1, 8, v1
	s_andn2_b64 exec, exec, s[34:35]
	s_cbranch_execnz .LBB8_139
.LBB8_140:
	s_or_b64 exec, exec, s[30:31]
	v_and_b32_e32 v1, -2, v27
	v_cmp_ne_u32_e32 vcc, v27, v1
	s_mov_b64 s[30:31], 0
                                        ; implicit-def: $vgpr0
                                        ; implicit-def: $vgpr34
	s_and_saveexec_b64 s[34:35], vcc
; %bb.141:
	v_add_u32_e32 v0, v44, v1
	s_mov_b64 s[30:31], exec
	v_lshlrev_b32_e32 v34, 2, v0
; %bb.142:
	s_or_b64 exec, exec, s[34:35]
	s_orn2_b64 s[34:35], s[30:31], exec
.LBB8_143:
	s_or_b64 exec, exec, s[20:21]
	s_and_saveexec_b64 s[20:21], s[34:35]
	s_cbranch_execz .LBB8_146
; %bb.144:
	v_add_u32_e32 v1, 0x2380, v34
	s_mov_b64 s[30:31], 0
	v_mov_b32_e32 v2, 0
	s_movk_i32 s34, 0x7ff
.LBB8_145:                              ; =>This Inner Loop Header: Depth=1
	v_add_u32_e32 v0, s43, v0
	v_cmp_lt_u32_e32 vcc, s34, v0
	ds_write_b32 v1, v2
	s_or_b64 s[30:31], vcc, s[30:31]
	v_add_u32_e32 v1, s46, v1
	s_andn2_b64 exec, exec, s[30:31]
	s_cbranch_execnz .LBB8_145
.LBB8_146:
	s_or_b64 exec, exec, s[20:21]
	s_and_saveexec_b64 s[20:21], s[6:7]
	s_cbranch_execz .LBB8_148
; %bb.147:
	v_mov_b32_e32 v0, 0
	ds_write_b32 v0, v0 offset:128
.LBB8_148:
	s_or_b64 exec, exec, s[20:21]
	v_mov_b32_e32 v0, 0
	s_waitcnt lgkmcnt(0)
	s_barrier
	ds_read_b32 v23, v0 offset:12
	v_mov_b32_e32 v24, v44
	s_and_saveexec_b64 s[20:21], s[18:19]
	s_cbranch_execz .LBB8_184
; %bb.149:
	s_mov_b64 s[18:19], 0
	v_mov_b32_e32 v27, s48
	v_mov_b32_e32 v33, s52
	v_bfrev_b32_e32 v34, -2
	v_mov_b32_e32 v35, 1
	v_mov_b32_e32 v36, s53
	v_pk_mov_b32 v[24:25], v[44:45], v[44:45] op_sel:[0,1]
	s_branch .LBB8_151
.LBB8_150:                              ;   in Loop: Header=BB8_151 Depth=1
	s_or_b64 exec, exec, s[30:31]
	v_add_u32_e32 v24, s46, v24
	v_ashrrev_i32_e32 v25, 31, v24
	v_add_co_u32_e32 v16, vcc, s49, v24
	v_addc_co_u32_e32 v17, vcc, 0, v25, vcc
	v_cmp_le_u64_e32 vcc, s[28:29], v[16:17]
	s_or_b64 s[18:19], vcc, s[18:19]
	s_andn2_b64 exec, exec, s[18:19]
	s_cbranch_execz .LBB8_183
.LBB8_151:                              ; =>This Inner Loop Header: Depth=1
	v_lshlrev_b64 v[8:9], 4, v[24:25]
	v_add_co_u32_e32 v0, vcc, s47, v8
	v_addc_co_u32_e32 v1, vcc, v27, v9, vcc
	global_load_dwordx4 v[0:3], v[0:1], off
	v_add_co_u32_e32 v4, vcc, s50, v8
	v_addc_co_u32_e32 v5, vcc, v33, v9, vcc
	global_load_dwordx4 v[4:7], v[4:5], off
	s_waitcnt vmcnt(1)
	v_cmp_gt_i32_e32 vcc, 0, v0
	v_cndmask_b32_e64 v10, v34, 0, vcc
	v_xor_b32_e32 v0, v10, v0
	v_and_b32_e32 v10, 0xfffffc00, v0
	s_waitcnt lgkmcnt(0)
	v_cmp_eq_u32_e32 vcc, v10, v23
	s_and_saveexec_b64 s[30:31], vcc
	s_cbranch_execz .LBB8_153
; %bb.152:                              ;   in Loop: Header=BB8_151 Depth=1
	v_and_b32_e32 v0, 0x7ff, v0
	v_lshlrev_b32_e32 v0, 2, v0
	ds_add_u32 v0, v35 offset:9088
.LBB8_153:                              ;   in Loop: Header=BB8_151 Depth=1
	s_or_b64 exec, exec, s[30:31]
	v_cmp_gt_i32_e32 vcc, 0, v1
	v_cndmask_b32_e64 v0, v34, 0, vcc
	v_xor_b32_e32 v0, v0, v1
	v_and_b32_e32 v1, 0xfffffc00, v0
	v_cmp_eq_u32_e32 vcc, v1, v23
	s_and_saveexec_b64 s[30:31], vcc
	s_cbranch_execz .LBB8_155
; %bb.154:                              ;   in Loop: Header=BB8_151 Depth=1
	v_and_b32_e32 v0, 0x7ff, v0
	v_lshlrev_b32_e32 v0, 2, v0
	ds_add_u32 v0, v35 offset:9088
.LBB8_155:                              ;   in Loop: Header=BB8_151 Depth=1
	s_or_b64 exec, exec, s[30:31]
	v_cmp_gt_i32_e32 vcc, 0, v2
	v_cndmask_b32_e64 v0, v34, 0, vcc
	v_xor_b32_e32 v0, v0, v2
	v_and_b32_e32 v1, 0xfffffc00, v0
	;; [unrolled: 13-line block ×3, first 2 shown]
	v_cmp_eq_u32_e32 vcc, v1, v23
	s_and_saveexec_b64 s[30:31], vcc
	s_cbranch_execz .LBB8_159
; %bb.158:                              ;   in Loop: Header=BB8_151 Depth=1
	v_and_b32_e32 v0, 0x7ff, v0
	v_lshlrev_b32_e32 v0, 2, v0
	ds_add_u32 v0, v35 offset:9088
.LBB8_159:                              ;   in Loop: Header=BB8_151 Depth=1
	s_or_b64 exec, exec, s[30:31]
	v_add_co_u32_e32 v38, vcc, s51, v8
	v_addc_co_u32_e32 v39, vcc, v36, v9, vcc
	v_lshlrev_b64 v[0:1], 4, v[16:17]
	v_add_co_u32_e32 v16, vcc, s47, v0
	v_addc_co_u32_e32 v17, vcc, v27, v1, vcc
	global_load_dwordx4 v[8:11], v[38:39], off
	global_load_dwordx4 v[0:3], v[16:17], off
	s_waitcnt vmcnt(2)
	v_cmp_gt_i32_e32 vcc, 0, v4
	v_cndmask_b32_e64 v16, v34, 0, vcc
	v_xor_b32_e32 v4, v16, v4
	v_and_b32_e32 v16, 0xfffffc00, v4
	v_cmp_eq_u32_e32 vcc, v16, v23
	s_and_saveexec_b64 s[30:31], vcc
	s_cbranch_execz .LBB8_161
; %bb.160:                              ;   in Loop: Header=BB8_151 Depth=1
	v_and_b32_e32 v4, 0x7ff, v4
	v_lshlrev_b32_e32 v4, 2, v4
	ds_add_u32 v4, v35 offset:9088
.LBB8_161:                              ;   in Loop: Header=BB8_151 Depth=1
	s_or_b64 exec, exec, s[30:31]
	v_cmp_gt_i32_e32 vcc, 0, v5
	v_cndmask_b32_e64 v4, v34, 0, vcc
	v_xor_b32_e32 v4, v4, v5
	v_and_b32_e32 v5, 0xfffffc00, v4
	v_cmp_eq_u32_e32 vcc, v5, v23
	s_and_saveexec_b64 s[30:31], vcc
	s_cbranch_execz .LBB8_163
; %bb.162:                              ;   in Loop: Header=BB8_151 Depth=1
	v_and_b32_e32 v4, 0x7ff, v4
	v_lshlrev_b32_e32 v4, 2, v4
	ds_add_u32 v4, v35 offset:9088
.LBB8_163:                              ;   in Loop: Header=BB8_151 Depth=1
	s_or_b64 exec, exec, s[30:31]
	;; [unrolled: 13-line block ×4, first 2 shown]
	s_waitcnt vmcnt(1)
	v_cmp_gt_i32_e32 vcc, 0, v8
	v_cndmask_b32_e64 v4, v34, 0, vcc
	v_xor_b32_e32 v4, v4, v8
	v_and_b32_e32 v5, 0xfffffc00, v4
	v_cmp_eq_u32_e32 vcc, v5, v23
	s_and_saveexec_b64 s[30:31], vcc
	s_cbranch_execz .LBB8_169
; %bb.168:                              ;   in Loop: Header=BB8_151 Depth=1
	v_and_b32_e32 v4, 0x7ff, v4
	v_lshlrev_b32_e32 v4, 2, v4
	ds_add_u32 v4, v35 offset:9088
.LBB8_169:                              ;   in Loop: Header=BB8_151 Depth=1
	s_or_b64 exec, exec, s[30:31]
	v_cmp_gt_i32_e32 vcc, 0, v9
	v_cndmask_b32_e64 v4, v34, 0, vcc
	v_xor_b32_e32 v4, v4, v9
	v_and_b32_e32 v5, 0xfffffc00, v4
	v_cmp_eq_u32_e32 vcc, v5, v23
	s_and_saveexec_b64 s[30:31], vcc
	s_cbranch_execz .LBB8_171
; %bb.170:                              ;   in Loop: Header=BB8_151 Depth=1
	v_and_b32_e32 v4, 0x7ff, v4
	v_lshlrev_b32_e32 v4, 2, v4
	ds_add_u32 v4, v35 offset:9088
.LBB8_171:                              ;   in Loop: Header=BB8_151 Depth=1
	s_or_b64 exec, exec, s[30:31]
	;; [unrolled: 13-line block ×4, first 2 shown]
	s_waitcnt vmcnt(0)
	v_cmp_gt_i32_e32 vcc, 0, v0
	v_cndmask_b32_e64 v4, v34, 0, vcc
	v_xor_b32_e32 v0, v4, v0
	v_and_b32_e32 v4, 0xfffffc00, v0
	v_cmp_eq_u32_e32 vcc, v4, v23
	s_and_saveexec_b64 s[30:31], vcc
	s_cbranch_execz .LBB8_177
; %bb.176:                              ;   in Loop: Header=BB8_151 Depth=1
	v_and_b32_e32 v0, 0x7ff, v0
	v_lshlrev_b32_e32 v0, 2, v0
	ds_add_u32 v0, v35 offset:9088
.LBB8_177:                              ;   in Loop: Header=BB8_151 Depth=1
	s_or_b64 exec, exec, s[30:31]
	v_cmp_gt_i32_e32 vcc, 0, v1
	v_cndmask_b32_e64 v0, v34, 0, vcc
	v_xor_b32_e32 v0, v0, v1
	v_and_b32_e32 v1, 0xfffffc00, v0
	v_cmp_eq_u32_e32 vcc, v1, v23
	s_and_saveexec_b64 s[30:31], vcc
	s_cbranch_execz .LBB8_179
; %bb.178:                              ;   in Loop: Header=BB8_151 Depth=1
	v_and_b32_e32 v0, 0x7ff, v0
	v_lshlrev_b32_e32 v0, 2, v0
	ds_add_u32 v0, v35 offset:9088
.LBB8_179:                              ;   in Loop: Header=BB8_151 Depth=1
	s_or_b64 exec, exec, s[30:31]
	;; [unrolled: 13-line block ×3, first 2 shown]
	v_cmp_gt_i32_e32 vcc, 0, v3
	v_cndmask_b32_e64 v0, v34, 0, vcc
	v_xor_b32_e32 v0, v0, v3
	v_and_b32_e32 v1, 0xfffffc00, v0
	v_cmp_eq_u32_e32 vcc, v1, v23
	s_and_saveexec_b64 s[30:31], vcc
	s_cbranch_execz .LBB8_150
; %bb.182:                              ;   in Loop: Header=BB8_151 Depth=1
	v_and_b32_e32 v0, 0x7ff, v0
	v_lshlrev_b32_e32 v0, 2, v0
	ds_add_u32 v0, v35 offset:9088
	s_branch .LBB8_150
.LBB8_183:
	s_or_b64 exec, exec, s[18:19]
.LBB8_184:
	s_or_b64 exec, exec, s[20:21]
	v_cmp_gt_i32_e32 vcc, s28, v24
	s_and_saveexec_b64 s[18:19], vcc
	s_cbranch_execz .LBB8_195
; %bb.185:
	s_mov_b64 s[20:21], 0
	v_mov_b32_e32 v4, s48
	v_bfrev_b32_e32 v5, -2
	v_mov_b32_e32 v6, 1
	s_branch .LBB8_187
.LBB8_186:                              ;   in Loop: Header=BB8_187 Depth=1
	s_or_b64 exec, exec, s[30:31]
	v_add_u32_e32 v24, s43, v24
	v_cmp_le_i32_e32 vcc, s28, v24
	s_or_b64 s[20:21], vcc, s[20:21]
	s_andn2_b64 exec, exec, s[20:21]
	s_cbranch_execz .LBB8_195
.LBB8_187:                              ; =>This Inner Loop Header: Depth=1
	v_ashrrev_i32_e32 v25, 31, v24
	v_lshlrev_b64 v[0:1], 4, v[24:25]
	v_add_co_u32_e32 v0, vcc, s47, v0
	v_addc_co_u32_e32 v1, vcc, v4, v1, vcc
	global_load_dwordx4 v[0:3], v[0:1], off
	s_waitcnt vmcnt(0)
	v_cmp_gt_i32_e32 vcc, 0, v0
	v_cndmask_b32_e64 v7, v5, 0, vcc
	v_xor_b32_e32 v0, v7, v0
	v_and_b32_e32 v7, 0xfffffc00, v0
	s_waitcnt lgkmcnt(0)
	v_cmp_eq_u32_e32 vcc, v7, v23
	s_and_saveexec_b64 s[30:31], vcc
	s_cbranch_execz .LBB8_189
; %bb.188:                              ;   in Loop: Header=BB8_187 Depth=1
	v_and_b32_e32 v0, 0x7ff, v0
	v_lshlrev_b32_e32 v0, 2, v0
	ds_add_u32 v0, v6 offset:9088
.LBB8_189:                              ;   in Loop: Header=BB8_187 Depth=1
	s_or_b64 exec, exec, s[30:31]
	v_cmp_gt_i32_e32 vcc, 0, v1
	v_cndmask_b32_e64 v0, v5, 0, vcc
	v_xor_b32_e32 v0, v0, v1
	v_and_b32_e32 v1, 0xfffffc00, v0
	v_cmp_eq_u32_e32 vcc, v1, v23
	s_and_saveexec_b64 s[30:31], vcc
	s_cbranch_execz .LBB8_191
; %bb.190:                              ;   in Loop: Header=BB8_187 Depth=1
	v_and_b32_e32 v0, 0x7ff, v0
	v_lshlrev_b32_e32 v0, 2, v0
	ds_add_u32 v0, v6 offset:9088
.LBB8_191:                              ;   in Loop: Header=BB8_187 Depth=1
	s_or_b64 exec, exec, s[30:31]
	v_cmp_gt_i32_e32 vcc, 0, v2
	v_cndmask_b32_e64 v0, v5, 0, vcc
	v_xor_b32_e32 v0, v0, v2
	v_and_b32_e32 v1, 0xfffffc00, v0
	;; [unrolled: 13-line block ×3, first 2 shown]
	v_cmp_eq_u32_e32 vcc, v1, v23
	s_and_saveexec_b64 s[30:31], vcc
	s_cbranch_execz .LBB8_186
; %bb.194:                              ;   in Loop: Header=BB8_187 Depth=1
	v_and_b32_e32 v0, 0x7ff, v0
	v_lshlrev_b32_e32 v0, 2, v0
	ds_add_u32 v0, v6 offset:9088
	s_branch .LBB8_186
.LBB8_195:
	s_or_b64 exec, exec, s[18:19]
	s_and_saveexec_b64 s[18:19], s[10:11]
	s_cbranch_execz .LBB8_198
; %bb.196:
	global_load_dword v0, v[18:19], off
	v_bfrev_b32_e32 v1, -2
	s_waitcnt vmcnt(0)
	v_cmp_gt_i32_e32 vcc, 0, v0
	v_cndmask_b32_e64 v1, v1, 0, vcc
	v_xor_b32_e32 v0, v1, v0
	v_and_b32_e32 v1, 0xfffffc00, v0
	s_waitcnt lgkmcnt(0)
	v_cmp_eq_u32_e32 vcc, v1, v23
	s_and_b64 exec, exec, vcc
	s_cbranch_execz .LBB8_198
; %bb.197:
	v_and_b32_e32 v0, 0x7ff, v0
	v_lshlrev_b32_e32 v0, 2, v0
	v_mov_b32_e32 v1, 1
	ds_add_u32 v0, v1 offset:9088
.LBB8_198:
	s_or_b64 exec, exec, s[18:19]
	s_and_saveexec_b64 s[10:11], s[14:15]
	s_cbranch_execz .LBB8_201
; %bb.199:
	global_load_dword v0, v[20:21], off
	v_bfrev_b32_e32 v1, -2
	s_waitcnt vmcnt(0)
	v_cmp_gt_i32_e32 vcc, 0, v0
	v_cndmask_b32_e64 v1, v1, 0, vcc
	v_xor_b32_e32 v0, v1, v0
	v_and_b32_e32 v1, 0xfffffc00, v0
	s_waitcnt lgkmcnt(0)
	v_cmp_eq_u32_e32 vcc, v1, v23
	s_and_b64 exec, exec, vcc
	s_cbranch_execz .LBB8_201
; %bb.200:
	v_and_b32_e32 v0, 0x7ff, v0
	v_lshlrev_b32_e32 v0, 2, v0
	v_mov_b32_e32 v1, 1
	ds_add_u32 v0, v1 offset:9088
.LBB8_201:
	s_or_b64 exec, exec, s[10:11]
	s_waitcnt lgkmcnt(0)
	s_barrier
	flat_load_dword v0, v[12:13] glc
	s_waitcnt vmcnt(0)
	flat_load_dword v1, v[14:15] glc
	s_waitcnt vmcnt(0) lgkmcnt(0)
	ds_write_b32 v29, v0
	ds_write_b32 v30, v1 offset:4096
	s_waitcnt lgkmcnt(0)
	s_barrier
	ds_read2_b32 v[0:1], v31 offset1:1
	s_waitcnt lgkmcnt(0)
	s_barrier
	v_add_u32_e32 v2, v1, v0
	ds_write_b32 v29, v2
	s_waitcnt lgkmcnt(0)
	s_barrier
	s_and_saveexec_b64 s[10:11], s[16:17]
	s_cbranch_execz .LBB8_203
; %bb.202:
	ds_read2_b32 v[4:5], v26 offset1:1
	ds_read2_b32 v[6:7], v26 offset0:2 offset1:3
	ds_read2_b32 v[8:9], v26 offset0:4 offset1:5
	;; [unrolled: 1-line block ×7, first 2 shown]
	s_waitcnt lgkmcnt(7)
	v_add_u32_e32 v3, v5, v4
	s_waitcnt lgkmcnt(6)
	v_add3_u32 v3, v3, v6, v7
	s_waitcnt lgkmcnt(5)
	v_add3_u32 v3, v3, v8, v9
	;; [unrolled: 2-line block ×5, first 2 shown]
	v_mbcnt_lo_u32_b32 v23, -1, 0
	s_waitcnt lgkmcnt(1)
	v_add3_u32 v3, v3, v20, v21
	v_mbcnt_hi_u32_b32 v23, -1, v23
	s_waitcnt lgkmcnt(0)
	v_add3_u32 v3, v3, v24, v25
	v_and_b32_e32 v27, 15, v23
	v_cmp_ne_u32_e32 vcc, 0, v27
	v_mov_b32_dpp v33, v3 row_shr:1 row_mask:0xf bank_mask:0xf
	v_cndmask_b32_e32 v33, 0, v33, vcc
	v_add_u32_e32 v3, v33, v3
	v_cmp_lt_u32_e32 vcc, 1, v27
	s_nop 0
	v_mov_b32_dpp v33, v3 row_shr:2 row_mask:0xf bank_mask:0xf
	v_cndmask_b32_e32 v33, 0, v33, vcc
	v_add_u32_e32 v3, v3, v33
	v_cmp_lt_u32_e32 vcc, 3, v27
	s_nop 0
	;; [unrolled: 5-line block ×3, first 2 shown]
	v_mov_b32_dpp v33, v3 row_shr:8 row_mask:0xf bank_mask:0xf
	v_cndmask_b32_e32 v27, 0, v33, vcc
	v_add_u32_e32 v3, v3, v27
	v_bfe_i32 v33, v23, 4, 1
	v_cmp_lt_u32_e32 vcc, 31, v23
	v_mov_b32_dpp v27, v3 row_bcast:15 row_mask:0xf bank_mask:0xf
	v_and_b32_e32 v27, v33, v27
	v_add_u32_e32 v3, v3, v27
	v_and_b32_e32 v33, 64, v23
	s_nop 0
	v_mov_b32_dpp v27, v3 row_bcast:31 row_mask:0xf bank_mask:0xf
	v_cndmask_b32_e32 v27, 0, v27, vcc
	v_add_u32_e32 v3, v3, v27
	v_add_u32_e32 v27, -1, v23
	v_cmp_lt_i32_e32 vcc, v27, v33
	v_cndmask_b32_e32 v23, v27, v23, vcc
	v_lshlrev_b32_e32 v23, 2, v23
	ds_bpermute_b32 v3, v23, v3
	s_waitcnt lgkmcnt(0)
	v_add_u32_e32 v3, v3, v4
	v_cndmask_b32_e64 v2, v3, v2, s[6:7]
	v_add_u32_e32 v3, v2, v5
	ds_write2_b32 v26, v2, v3 offset1:1
	v_add_u32_e32 v2, v3, v6
	v_add_u32_e32 v3, v2, v7
	ds_write2_b32 v26, v2, v3 offset0:2 offset1:3
	v_add_u32_e32 v2, v3, v8
	v_add_u32_e32 v3, v2, v9
	ds_write2_b32 v26, v2, v3 offset0:4 offset1:5
	;; [unrolled: 3-line block ×7, first 2 shown]
.LBB8_203:
	s_or_b64 exec, exec, s[10:11]
	v_mov_b32_e32 v2, 0
	v_mov_b32_e32 v3, 0
	s_waitcnt lgkmcnt(0)
	s_barrier
	s_and_saveexec_b64 s[10:11], s[8:9]
	s_cbranch_execz .LBB8_205
; %bb.204:
	ds_read_b32 v3, v32
.LBB8_205:
	s_or_b64 exec, exec, s[10:11]
	s_waitcnt lgkmcnt(0)
	v_add_u32_e32 v0, v3, v0
	v_add_u32_e32 v1, v0, v1
	s_barrier
	ds_write2_b32 v31, v0, v1 offset1:1
	s_waitcnt lgkmcnt(0)
	s_barrier
	ds_read_b32 v0, v29
	ds_read_b32 v1, v30 offset:4096
	s_waitcnt lgkmcnt(1)
	flat_store_dword v[12:13], v0
	s_waitcnt vmcnt(0) lgkmcnt(0)
	flat_store_dword v[14:15], v1
	s_waitcnt vmcnt(0) lgkmcnt(0)
	s_barrier
	ds_read_b32 v0, v2 offset:12
	s_mov_b64 s[10:11], 0
	s_movk_i32 s14, 0x7ff
	v_mov_b32_e32 v1, v44
	s_branch .LBB8_207
.LBB8_206:                              ;   in Loop: Header=BB8_207 Depth=1
	s_or_b64 exec, exec, s[8:9]
	v_add_u32_e32 v1, s43, v1
	v_cmp_lt_u32_e32 vcc, s14, v1
	s_or_b64 s[10:11], vcc, s[10:11]
	v_add_u32_e32 v28, s46, v28
	s_andn2_b64 exec, exec, s[10:11]
	s_cbranch_execz .LBB8_211
.LBB8_207:                              ; =>This Inner Loop Header: Depth=1
	v_cmp_ne_u32_e32 vcc, 0, v1
	v_mov_b32_e32 v3, 0
	s_and_saveexec_b64 s[8:9], vcc
	s_cbranch_execz .LBB8_209
; %bb.208:                              ;   in Loop: Header=BB8_207 Depth=1
	ds_read_b32 v3, v28
.LBB8_209:                              ;   in Loop: Header=BB8_207 Depth=1
	s_or_b64 exec, exec, s[8:9]
	ds_read_b32 v4, v28 offset:4
	s_waitcnt lgkmcnt(1)
	v_cmp_lt_i32_e32 vcc, v3, v22
	s_waitcnt lgkmcnt(0)
	v_cmp_ge_i32_e64 s[8:9], v4, v22
	s_and_b64 s[16:17], vcc, s[8:9]
	s_and_saveexec_b64 s[8:9], s[16:17]
	s_cbranch_execz .LBB8_206
; %bb.210:                              ;   in Loop: Header=BB8_207 Depth=1
	v_sub_u32_e32 v5, v4, v3
	v_sub_u32_e32 v4, v22, v3
	v_or_b32_e32 v0, v0, v1
	ds_write_b64 v2, v[4:5]
	ds_write_b32 v2, v0 offset:12
	s_branch .LBB8_206
.LBB8_211:
	s_or_b64 exec, exec, s[10:11]
	s_and_saveexec_b64 s[8:9], s[6:7]
	s_cbranch_execz .LBB8_213
; %bb.212:
	v_mov_b32_e32 v0, 0
	ds_read_b32 v1, v0 offset:4
	s_waitcnt lgkmcnt(0)
	ds_write_b32 v0, v1 offset:8
.LBB8_213:
	s_or_b64 exec, exec, s[8:9]
	s_mov_b32 s20, 2
	s_waitcnt lgkmcnt(0)
	s_barrier
.LBB8_214:
	s_lshl_b64 s[34:35], s[24:25], 2
	s_add_u32 s6, s36, s34
	s_addc_u32 s7, s37, s35
	s_add_u32 s36, s38, s34
	s_addc_u32 s37, s39, s35
	;; [unrolled: 2-line block ×3, first 2 shown]
	s_cmp_lg_u64 s[22:23], 0
	s_cselect_b32 s10, s8, 0
	s_cselect_b32 s11, s9, 0
	s_add_u32 s8, s4, 0x58
	s_addc_u32 s9, s5, 0
	v_mov_b32_e32 v31, v44
	v_mov_b32_e32 v0, s45
	;; [unrolled: 1-line block ×12, first 2 shown]
	s_getpc_b64 s[4:5]
	s_add_u32 s4, s4, _ZN5aiter2ob11last_filterIfiLi11ELb1ELb0EEEvPKT_PKT0_PS2_PS5_S5_S5_PNS0_7CounterIS2_S5_EEbib@rel32@lo+4
	s_addc_u32 s5, s5, _ZN5aiter2ob11last_filterIfiLi11ELb1ELb0EEEvPKT_PKT0_PS2_PS5_S5_S5_PNS0_7CounterIS2_S5_EEbib@rel32@hi+12
	s_swappc_b64 s[30:31], s[4:5]
	s_cmp_eq_u32 s33, 0
	s_cbranch_scc1 .LBB8_225
; %bb.215:
	v_cmp_gt_i32_e32 vcc, s42, v44
	s_barrier
	s_and_saveexec_b64 s[4:5], vcc
	s_cbranch_execz .LBB8_225
; %bb.216:
	v_xad_u32 v0, v44, -1, s42
	s_movk_i32 s4, 0x3ff
	v_cmp_lt_u32_e32 vcc, s4, v0
	s_mov_b64 s[6:7], -1
	s_and_saveexec_b64 s[4:5], vcc
	s_cbranch_execz .LBB8_222
; %bb.217:
	v_lshrrev_b32_e32 v0, 10, v0
	v_add_u32_e32 v5, 1, v0
	v_and_b32_e32 v4, 0x7ffffe, v5
	v_or_b32_e32 v45, 0x400, v44
	s_mov_b32 s8, s33
	s_mov_b64 s[6:7], 0
	v_mov_b32_e32 v6, s37
	v_mov_b32_e32 v1, 0
	;; [unrolled: 1-line block ×3, first 2 shown]
	v_pk_mov_b32 v[2:3], v[44:45], v[44:45] op_sel:[0,1]
.LBB8_218:                              ; =>This Inner Loop Header: Depth=1
	v_mov_b32_e32 v0, v2
	v_lshlrev_b64 v[8:9], 2, v[0:1]
	v_mov_b32_e32 v0, v3
	v_add_co_u32_e32 v8, vcc, s36, v8
	v_addc_co_u32_e32 v9, vcc, v6, v9, vcc
	v_lshlrev_b64 v[10:11], 2, v[0:1]
	v_add_co_u32_e32 v10, vcc, s36, v10
	v_addc_co_u32_e32 v11, vcc, v6, v11, vcc
	global_load_dword v0, v[8:9], off
	global_load_dword v12, v[10:11], off
	v_add_u32_e32 v7, -2, v7
	v_cmp_eq_u32_e32 vcc, 0, v7
	v_add_u32_e32 v2, 0x800, v2
	v_add_u32_e32 v3, 0x800, v3
	s_or_b64 s[6:7], vcc, s[6:7]
	s_waitcnt vmcnt(1)
	v_add_u32_e32 v0, s33, v0
	s_waitcnt vmcnt(0)
	v_add_u32_e32 v12, s8, v12
	global_store_dword v[8:9], v0, off
	global_store_dword v[10:11], v12, off
	s_andn2_b64 exec, exec, s[6:7]
	s_cbranch_execnz .LBB8_218
; %bb.219:
	s_or_b64 exec, exec, s[6:7]
	v_cmp_ne_u32_e32 vcc, v5, v4
	s_mov_b64 s[6:7], 0
	s_and_saveexec_b64 s[8:9], vcc
; %bb.220:
	s_mov_b64 s[6:7], exec
	v_lshl_or_b32 v44, v4, 10, v44
	v_mov_b32_e32 v45, 0
; %bb.221:
	s_or_b64 exec, exec, s[8:9]
	s_orn2_b64 s[6:7], s[6:7], exec
.LBB8_222:
	s_or_b64 exec, exec, s[4:5]
	s_and_b64 exec, exec, s[6:7]
	s_cbranch_execz .LBB8_225
; %bb.223:
	s_add_u32 s4, s38, s34
	v_lshlrev_b64 v[0:1], 2, v[44:45]
	s_addc_u32 s5, s39, s35
	v_mov_b32_e32 v2, s5
	v_add_co_u32_e32 v0, vcc, s4, v0
	v_addc_co_u32_e32 v1, vcc, v2, v1, vcc
	s_mov_b64 s[4:5], 0
.LBB8_224:                              ; =>This Inner Loop Header: Depth=1
	global_load_dword v2, v[0:1], off
	v_add_u32_e32 v44, 0x400, v44
	v_cmp_le_i32_e32 vcc, s42, v44
	s_or_b64 s[4:5], vcc, s[4:5]
	s_waitcnt vmcnt(0)
	v_add_u32_e32 v2, s33, v2
	global_store_dword v[0:1], v2, off
	v_add_co_u32_e32 v0, vcc, 0x1000, v0
	v_addc_co_u32_e32 v1, vcc, 0, v1, vcc
	s_andn2_b64 exec, exec, s[4:5]
	s_cbranch_execnz .LBB8_224
.LBB8_225:
	s_endpgm
	.section	.rodata,"a",@progbits
	.p2align	6, 0x0
	.amdhsa_kernel _ZN5aiter2ob27radix_topk_one_block_kernelIfiLi11ELi1024ELb1ELb0ELNS0_5PhaseE0EEEvPKT_PKT0_lS8_S8_S6_PS3_PS6_bPci
		.amdhsa_group_segment_fixed_size 17280
		.amdhsa_private_segment_fixed_size 0
		.amdhsa_kernarg_size 344
		.amdhsa_user_sgpr_count 8
		.amdhsa_user_sgpr_private_segment_buffer 1
		.amdhsa_user_sgpr_dispatch_ptr 0
		.amdhsa_user_sgpr_queue_ptr 0
		.amdhsa_user_sgpr_kernarg_segment_ptr 1
		.amdhsa_user_sgpr_dispatch_id 0
		.amdhsa_user_sgpr_flat_scratch_init 1
		.amdhsa_user_sgpr_kernarg_preload_length 0
		.amdhsa_user_sgpr_kernarg_preload_offset 0
		.amdhsa_user_sgpr_private_segment_size 0
		.amdhsa_uses_dynamic_stack 0
		.amdhsa_system_sgpr_private_segment_wavefront_offset 0
		.amdhsa_system_sgpr_workgroup_id_x 1
		.amdhsa_system_sgpr_workgroup_id_y 0
		.amdhsa_system_sgpr_workgroup_id_z 0
		.amdhsa_system_sgpr_workgroup_info 0
		.amdhsa_system_vgpr_workitem_id 0
		.amdhsa_next_free_vgpr 64
		.amdhsa_next_free_sgpr 56
		.amdhsa_accum_offset 56
		.amdhsa_reserve_vcc 1
		.amdhsa_reserve_flat_scratch 1
		.amdhsa_float_round_mode_32 0
		.amdhsa_float_round_mode_16_64 0
		.amdhsa_float_denorm_mode_32 3
		.amdhsa_float_denorm_mode_16_64 3
		.amdhsa_dx10_clamp 1
		.amdhsa_ieee_mode 1
		.amdhsa_fp16_overflow 0
		.amdhsa_tg_split 0
		.amdhsa_exception_fp_ieee_invalid_op 0
		.amdhsa_exception_fp_denorm_src 0
		.amdhsa_exception_fp_ieee_div_zero 0
		.amdhsa_exception_fp_ieee_overflow 0
		.amdhsa_exception_fp_ieee_underflow 0
		.amdhsa_exception_fp_ieee_inexact 0
		.amdhsa_exception_int_div_zero 0
	.end_amdhsa_kernel
	.section	.text._ZN5aiter2ob27radix_topk_one_block_kernelIfiLi11ELi1024ELb1ELb0ELNS0_5PhaseE0EEEvPKT_PKT0_lS8_S8_S6_PS3_PS6_bPci,"axG",@progbits,_ZN5aiter2ob27radix_topk_one_block_kernelIfiLi11ELi1024ELb1ELb0ELNS0_5PhaseE0EEEvPKT_PKT0_lS8_S8_S6_PS3_PS6_bPci,comdat
.Lfunc_end8:
	.size	_ZN5aiter2ob27radix_topk_one_block_kernelIfiLi11ELi1024ELb1ELb0ELNS0_5PhaseE0EEEvPKT_PKT0_lS8_S8_S6_PS3_PS6_bPci, .Lfunc_end8-_ZN5aiter2ob27radix_topk_one_block_kernelIfiLi11ELi1024ELb1ELb0ELNS0_5PhaseE0EEEvPKT_PKT0_lS8_S8_S6_PS3_PS6_bPci
                                        ; -- End function
	.section	.AMDGPU.csdata,"",@progbits
; Kernel info:
; codeLenInByte = 10112
; NumSgprs: 62
; NumVgprs: 56
; NumAgprs: 8
; TotalNumVgprs: 64
; ScratchSize: 0
; MemoryBound: 0
; FloatMode: 240
; IeeeMode: 1
; LDSByteSize: 17280 bytes/workgroup (compile time only)
; SGPRBlocks: 7
; VGPRBlocks: 7
; NumSGPRsForWavesPerEU: 62
; NumVGPRsForWavesPerEU: 64
; AccumOffset: 56
; Occupancy: 8
; WaveLimiterHint : 0
; COMPUTE_PGM_RSRC2:SCRATCH_EN: 0
; COMPUTE_PGM_RSRC2:USER_SGPR: 8
; COMPUTE_PGM_RSRC2:TRAP_HANDLER: 0
; COMPUTE_PGM_RSRC2:TGID_X_EN: 1
; COMPUTE_PGM_RSRC2:TGID_Y_EN: 0
; COMPUTE_PGM_RSRC2:TGID_Z_EN: 0
; COMPUTE_PGM_RSRC2:TIDIG_COMP_CNT: 0
; COMPUTE_PGM_RSRC3_GFX90A:ACCUM_OFFSET: 13
; COMPUTE_PGM_RSRC3_GFX90A:TG_SPLIT: 0
	.text
	.p2align	2                               ; -- Begin function _ZN5aiter2ob11last_filterIfiLi12ELb0ELb0EEEvPKT_PKT0_PS2_PS5_S5_S5_PNS0_7CounterIS2_S5_EEbib
	.type	_ZN5aiter2ob11last_filterIfiLi12ELb0ELb0EEEvPKT_PKT0_PS2_PS5_S5_S5_PNS0_7CounterIS2_S5_EEbib,@function
_ZN5aiter2ob11last_filterIfiLi12ELb0ELb0EEEvPKT_PKT0_PS2_PS5_S5_S5_PNS0_7CounterIS2_S5_EEbib: ; @_ZN5aiter2ob11last_filterIfiLi12ELb0ELb0EEEvPKT_PKT0_PS2_PS5_S5_S5_PNS0_7CounterIS2_S5_EEbib
; %bb.0:
	s_waitcnt vmcnt(0) expcnt(0) lgkmcnt(0)
	v_accvgpr_write_b32 a0, v40             ;  Reload Reuse
	v_accvgpr_write_b32 a1, v41             ;  Reload Reuse
	;; [unrolled: 1-line block ×10, first 2 shown]
	v_accvgpr_write_b32 a10, v58            ;  Reload Reuse
	flat_load_dword v33, v[8:9] offset:12
	flat_load_dword v32, v[8:9]
	v_mad_u64_u32 v[10:11], s[4:5], v10, -12, 20
	v_max_i32_e32 v22, 0, v10
	v_cmp_ne_u64_e32 vcc, 0, v[2:3]
	s_and_saveexec_b64 s[4:5], vcc
	s_xor_b64 s[4:5], exec, s[4:5]
	s_cbranch_execz .LBB9_99
; %bb.1:
	s_load_dword s6, s[8:9], 0x0
	v_mov_b32_e32 v11, 0
	v_and_b32_e32 v10, 0x3ff, v31
	s_waitcnt lgkmcnt(0)
	s_cmp_lt_u32 s12, s6
	s_cselect_b32 s6, 12, 18
	s_add_u32 s6, s8, s6
	s_addc_u32 s7, s9, 0
	global_load_ushort v12, v11, s[6:7]
	s_waitcnt vmcnt(0)
	v_mul_lo_u32 v23, v12, 7
	v_readfirstlane_b32 s13, v12
	v_add_u32_e32 v12, v10, v23
	v_cmp_lt_i32_e32 vcc, v12, v6
	s_and_saveexec_b64 s[6:7], vcc
	s_cbranch_execz .LBB9_85
; %bb.2:
	v_lshlrev_b32_e64 v24, v22, -1
	s_lshl_b32 s22, s13, 1
	s_mul_i32 s23, s13, 3
	s_lshl_b32 s24, s13, 2
	s_mul_i32 s25, s13, 5
	s_mul_i32 s26, s13, 6
	s_mov_b64 s[10:11], 0
	v_bfrev_b32_e32 v25, -2
	v_mov_b32_e32 v26, 1
	s_branch .LBB9_4
.LBB9_3:                                ;   in Loop: Header=BB9_4 Depth=1
	s_or_b64 exec, exec, s[14:15]
	s_add_i32 s14, s22, s13
	s_add_i32 s14, s14, s13
	;; [unrolled: 1-line block ×5, first 2 shown]
	v_add_u32_e32 v10, s14, v12
	v_add_u32_e32 v12, v23, v10
	v_cmp_ge_i32_e32 vcc, v12, v6
	s_or_b64 s[10:11], vcc, s[10:11]
	s_andn2_b64 exec, exec, s[10:11]
	s_cbranch_execz .LBB9_84
.LBB9_4:                                ; =>This Inner Loop Header: Depth=1
	s_waitcnt vmcnt(0) lgkmcnt(0)
	v_lshlrev_b64 v[14:15], 2, v[10:11]
	v_add_co_u32_e32 v28, vcc, v0, v14
	v_add_u32_e32 v12, s13, v10
	v_mov_b32_e32 v13, v11
	v_addc_co_u32_e32 v29, vcc, v1, v15, vcc
	v_lshlrev_b64 v[16:17], 2, v[12:13]
	v_add_co_u32_e32 v30, vcc, v0, v16
	v_add_u32_e32 v18, s22, v10
	v_mov_b32_e32 v19, v11
	v_addc_co_u32_e32 v31, vcc, v1, v17, vcc
	;; [unrolled: 5-line block ×3, first 2 shown]
	v_lshlrev_b64 v[38:39], 2, v[34:35]
	v_add_co_u32_e32 v48, vcc, v0, v38
	v_add_u32_e32 v34, s24, v10
	v_addc_co_u32_e32 v49, vcc, v1, v39, vcc
	v_lshlrev_b64 v[50:51], 2, v[34:35]
	v_add_co_u32_e32 v52, vcc, v0, v50
	v_add_u32_e32 v34, s25, v10
	v_addc_co_u32_e32 v53, vcc, v1, v51, vcc
	v_lshlrev_b64 v[54:55], 2, v[34:35]
	v_add_u32_e32 v20, v23, v10
	v_add_co_u32_e32 v40, vcc, v0, v54
	v_add_u32_e32 v10, s26, v10
	v_addc_co_u32_e32 v41, vcc, v1, v55, vcc
	v_lshlrev_b64 v[42:43], 2, v[10:11]
	v_add_co_u32_e32 v44, vcc, v0, v42
	v_mov_b32_e32 v21, v11
	v_addc_co_u32_e32 v45, vcc, v1, v43, vcc
	v_lshlrev_b64 v[46:47], 2, v[20:21]
	v_add_co_u32_e32 v56, vcc, v0, v46
	v_addc_co_u32_e32 v57, vcc, v1, v47, vcc
	v_add_co_u32_e32 v14, vcc, v2, v14
	v_addc_co_u32_e32 v15, vcc, v3, v15, vcc
	v_add_co_u32_e32 v16, vcc, v2, v16
	v_addc_co_u32_e32 v17, vcc, v3, v17, vcc
	v_add_co_u32_e32 v18, vcc, v2, v18
	v_addc_co_u32_e32 v19, vcc, v3, v19, vcc
	flat_load_dword v58, v[28:29]
	flat_load_dword v34, v[30:31]
	s_nop 0
	flat_load_dword v30, v[36:37]
	flat_load_dword v28, v[48:49]
	;; [unrolled: 1-line block ×6, first 2 shown]
	v_add_co_u32_e32 v36, vcc, v2, v38
	v_addc_co_u32_e32 v37, vcc, v3, v39, vcc
	v_add_co_u32_e32 v38, vcc, v2, v50
	v_addc_co_u32_e32 v39, vcc, v3, v51, vcc
	;; [unrolled: 2-line block ×5, first 2 shown]
	flat_load_dword v35, v[14:15]
	flat_load_dword v31, v[16:17]
	;; [unrolled: 1-line block ×3, first 2 shown]
	s_nop 0
	flat_load_dword v19, v[36:37]
	flat_load_dword v18, v[38:39]
	;; [unrolled: 1-line block ×5, first 2 shown]
	s_mov_b64 s[16:17], 0
	s_waitcnt vmcnt(0) lgkmcnt(0)
	v_cmp_gt_i32_e32 vcc, 0, v58
	v_cndmask_b32_e64 v14, v25, 0, vcc
	v_xor_b32_e32 v14, v14, v58
	v_and_b32_e32 v15, v14, v24
	v_cmp_ge_u32_e32 vcc, v15, v33
                                        ; implicit-def: $vgpr14
	s_and_saveexec_b64 s[14:15], vcc
	s_xor_b64 s[14:15], exec, s[14:15]
	s_cbranch_execnz .LBB9_35
; %bb.5:                                ;   in Loop: Header=BB9_4 Depth=1
	s_andn2_saveexec_b64 s[14:15], s[14:15]
	s_cbranch_execnz .LBB9_40
.LBB9_6:                                ;   in Loop: Header=BB9_4 Depth=1
	s_or_b64 exec, exec, s[14:15]
	s_and_saveexec_b64 s[14:15], s[16:17]
	s_cbranch_execz .LBB9_8
.LBB9_7:                                ;   in Loop: Header=BB9_4 Depth=1
	s_waitcnt vmcnt(0) lgkmcnt(0)
	v_ashrrev_i32_e32 v15, 31, v14
	v_lshlrev_b64 v[14:15], 2, v[14:15]
	v_add_co_u32_e32 v14, vcc, v4, v14
	v_addc_co_u32_e32 v15, vcc, v5, v15, vcc
	flat_store_dword v[14:15], v35
.LBB9_8:                                ;   in Loop: Header=BB9_4 Depth=1
	s_or_b64 exec, exec, s[14:15]
	v_cmp_gt_i32_e32 vcc, 0, v34
	s_waitcnt vmcnt(0) lgkmcnt(0)
	v_cndmask_b32_e64 v14, v25, 0, vcc
	v_xor_b32_e32 v14, v14, v34
	v_and_b32_e32 v15, v14, v24
	v_cmp_ge_u32_e32 vcc, v15, v33
	s_mov_b64 s[16:17], 0
                                        ; implicit-def: $vgpr14
	s_and_saveexec_b64 s[14:15], vcc
	s_xor_b64 s[14:15], exec, s[14:15]
	s_cbranch_execnz .LBB9_41
; %bb.9:                                ;   in Loop: Header=BB9_4 Depth=1
	s_andn2_saveexec_b64 s[14:15], s[14:15]
	s_cbranch_execnz .LBB9_46
.LBB9_10:                               ;   in Loop: Header=BB9_4 Depth=1
	s_or_b64 exec, exec, s[14:15]
	s_and_saveexec_b64 s[14:15], s[16:17]
	s_cbranch_execz .LBB9_12
.LBB9_11:                               ;   in Loop: Header=BB9_4 Depth=1
	s_waitcnt vmcnt(0) lgkmcnt(0)
	v_ashrrev_i32_e32 v15, 31, v14
	v_lshlrev_b64 v[14:15], 2, v[14:15]
	v_add_co_u32_e32 v14, vcc, v4, v14
	v_addc_co_u32_e32 v15, vcc, v5, v15, vcc
	flat_store_dword v[14:15], v31
.LBB9_12:                               ;   in Loop: Header=BB9_4 Depth=1
	s_or_b64 exec, exec, s[14:15]
	v_cmp_gt_i32_e32 vcc, 0, v30
	s_waitcnt vmcnt(0) lgkmcnt(0)
	v_cndmask_b32_e64 v14, v25, 0, vcc
	v_xor_b32_e32 v14, v14, v30
	v_and_b32_e32 v15, v14, v24
	v_cmp_ge_u32_e32 vcc, v15, v33
	s_mov_b64 s[16:17], 0
                                        ; implicit-def: $vgpr14
	s_and_saveexec_b64 s[14:15], vcc
	s_xor_b64 s[14:15], exec, s[14:15]
	s_cbranch_execnz .LBB9_47
; %bb.13:                               ;   in Loop: Header=BB9_4 Depth=1
	s_andn2_saveexec_b64 s[14:15], s[14:15]
	s_cbranch_execnz .LBB9_52
.LBB9_14:                               ;   in Loop: Header=BB9_4 Depth=1
	s_or_b64 exec, exec, s[14:15]
	s_and_saveexec_b64 s[14:15], s[16:17]
	s_cbranch_execz .LBB9_16
.LBB9_15:                               ;   in Loop: Header=BB9_4 Depth=1
	s_waitcnt vmcnt(0) lgkmcnt(0)
	v_ashrrev_i32_e32 v15, 31, v14
	v_lshlrev_b64 v[14:15], 2, v[14:15]
	v_add_co_u32_e32 v14, vcc, v4, v14
	v_addc_co_u32_e32 v15, vcc, v5, v15, vcc
	flat_store_dword v[14:15], v29
.LBB9_16:                               ;   in Loop: Header=BB9_4 Depth=1
	s_or_b64 exec, exec, s[14:15]
	v_cmp_gt_i32_e32 vcc, 0, v28
	s_waitcnt vmcnt(0) lgkmcnt(0)
	v_cndmask_b32_e64 v14, v25, 0, vcc
	v_xor_b32_e32 v14, v14, v28
	v_and_b32_e32 v15, v14, v24
	v_cmp_ge_u32_e32 vcc, v15, v33
	s_mov_b64 s[16:17], 0
                                        ; implicit-def: $vgpr14
	s_and_saveexec_b64 s[14:15], vcc
	s_xor_b64 s[14:15], exec, s[14:15]
	s_cbranch_execnz .LBB9_53
; %bb.17:                               ;   in Loop: Header=BB9_4 Depth=1
	s_andn2_saveexec_b64 s[14:15], s[14:15]
	s_cbranch_execnz .LBB9_58
.LBB9_18:                               ;   in Loop: Header=BB9_4 Depth=1
	s_or_b64 exec, exec, s[14:15]
	s_and_saveexec_b64 s[14:15], s[16:17]
	s_cbranch_execz .LBB9_20
.LBB9_19:                               ;   in Loop: Header=BB9_4 Depth=1
	s_waitcnt vmcnt(0) lgkmcnt(0)
	v_ashrrev_i32_e32 v15, 31, v14
	v_lshlrev_b64 v[14:15], 2, v[14:15]
	v_add_co_u32_e32 v14, vcc, v4, v14
	v_addc_co_u32_e32 v15, vcc, v5, v15, vcc
	flat_store_dword v[14:15], v19
.LBB9_20:                               ;   in Loop: Header=BB9_4 Depth=1
	s_or_b64 exec, exec, s[14:15]
	v_cmp_gt_i32_e32 vcc, 0, v27
	s_waitcnt vmcnt(0) lgkmcnt(0)
	v_cndmask_b32_e64 v14, v25, 0, vcc
	v_xor_b32_e32 v14, v14, v27
	v_and_b32_e32 v15, v14, v24
	v_cmp_ge_u32_e32 vcc, v15, v33
	s_mov_b64 s[16:17], 0
                                        ; implicit-def: $vgpr14
	s_and_saveexec_b64 s[14:15], vcc
	s_xor_b64 s[14:15], exec, s[14:15]
	s_cbranch_execnz .LBB9_59
; %bb.21:                               ;   in Loop: Header=BB9_4 Depth=1
	s_andn2_saveexec_b64 s[14:15], s[14:15]
	s_cbranch_execnz .LBB9_64
.LBB9_22:                               ;   in Loop: Header=BB9_4 Depth=1
	s_or_b64 exec, exec, s[14:15]
	s_and_saveexec_b64 s[14:15], s[16:17]
	s_cbranch_execz .LBB9_24
.LBB9_23:                               ;   in Loop: Header=BB9_4 Depth=1
	s_waitcnt vmcnt(0) lgkmcnt(0)
	v_ashrrev_i32_e32 v15, 31, v14
	v_lshlrev_b64 v[14:15], 2, v[14:15]
	v_add_co_u32_e32 v14, vcc, v4, v14
	v_addc_co_u32_e32 v15, vcc, v5, v15, vcc
	flat_store_dword v[14:15], v18
.LBB9_24:                               ;   in Loop: Header=BB9_4 Depth=1
	s_or_b64 exec, exec, s[14:15]
	v_cmp_gt_i32_e32 vcc, 0, v21
	s_waitcnt vmcnt(0) lgkmcnt(0)
	v_cndmask_b32_e64 v14, v25, 0, vcc
	v_xor_b32_e32 v14, v14, v21
	v_and_b32_e32 v15, v14, v24
	v_cmp_ge_u32_e32 vcc, v15, v33
	s_mov_b64 s[16:17], 0
                                        ; implicit-def: $vgpr14
	s_and_saveexec_b64 s[14:15], vcc
	s_xor_b64 s[14:15], exec, s[14:15]
	s_cbranch_execnz .LBB9_65
; %bb.25:                               ;   in Loop: Header=BB9_4 Depth=1
	s_andn2_saveexec_b64 s[14:15], s[14:15]
	s_cbranch_execnz .LBB9_70
.LBB9_26:                               ;   in Loop: Header=BB9_4 Depth=1
	s_or_b64 exec, exec, s[14:15]
	s_and_saveexec_b64 s[14:15], s[16:17]
	s_cbranch_execz .LBB9_28
.LBB9_27:                               ;   in Loop: Header=BB9_4 Depth=1
	s_waitcnt vmcnt(0) lgkmcnt(0)
	v_ashrrev_i32_e32 v15, 31, v14
	v_lshlrev_b64 v[14:15], 2, v[14:15]
	v_add_co_u32_e32 v14, vcc, v4, v14
	v_addc_co_u32_e32 v15, vcc, v5, v15, vcc
	flat_store_dword v[14:15], v17
.LBB9_28:                               ;   in Loop: Header=BB9_4 Depth=1
	s_or_b64 exec, exec, s[14:15]
	v_cmp_gt_i32_e32 vcc, 0, v20
	s_waitcnt vmcnt(0) lgkmcnt(0)
	v_cndmask_b32_e64 v14, v25, 0, vcc
	v_xor_b32_e32 v14, v14, v20
	v_and_b32_e32 v15, v14, v24
	v_cmp_ge_u32_e32 vcc, v15, v33
	s_mov_b64 s[16:17], 0
                                        ; implicit-def: $vgpr14
	s_and_saveexec_b64 s[14:15], vcc
	s_xor_b64 s[14:15], exec, s[14:15]
	s_cbranch_execnz .LBB9_71
; %bb.29:                               ;   in Loop: Header=BB9_4 Depth=1
	s_andn2_saveexec_b64 s[14:15], s[14:15]
	s_cbranch_execnz .LBB9_76
.LBB9_30:                               ;   in Loop: Header=BB9_4 Depth=1
	s_or_b64 exec, exec, s[14:15]
	s_and_saveexec_b64 s[14:15], s[16:17]
	s_cbranch_execz .LBB9_32
.LBB9_31:                               ;   in Loop: Header=BB9_4 Depth=1
	s_waitcnt vmcnt(0) lgkmcnt(0)
	v_ashrrev_i32_e32 v15, 31, v14
	v_lshlrev_b64 v[14:15], 2, v[14:15]
	v_add_co_u32_e32 v14, vcc, v4, v14
	v_addc_co_u32_e32 v15, vcc, v5, v15, vcc
	flat_store_dword v[14:15], v16
.LBB9_32:                               ;   in Loop: Header=BB9_4 Depth=1
	s_or_b64 exec, exec, s[14:15]
	v_cmp_gt_i32_e32 vcc, 0, v13
	s_waitcnt vmcnt(0) lgkmcnt(0)
	v_cndmask_b32_e64 v14, v25, 0, vcc
	v_xor_b32_e32 v13, v14, v13
	v_and_b32_e32 v13, v13, v24
	v_cmp_ge_u32_e32 vcc, v13, v33
	s_mov_b64 s[16:17], 0
                                        ; implicit-def: $vgpr14
	s_and_saveexec_b64 s[14:15], vcc
	s_xor_b64 s[14:15], exec, s[14:15]
	s_cbranch_execnz .LBB9_77
; %bb.33:                               ;   in Loop: Header=BB9_4 Depth=1
	s_andn2_saveexec_b64 s[14:15], s[14:15]
	s_cbranch_execnz .LBB9_82
.LBB9_34:                               ;   in Loop: Header=BB9_4 Depth=1
	s_or_b64 exec, exec, s[14:15]
	s_and_saveexec_b64 s[14:15], s[16:17]
	s_cbranch_execz .LBB9_3
	s_branch .LBB9_83
.LBB9_35:                               ;   in Loop: Header=BB9_4 Depth=1
	v_cmp_eq_u32_e32 vcc, v15, v33
	s_mov_b64 s[18:19], 0
                                        ; implicit-def: $vgpr14
	s_and_saveexec_b64 s[16:17], vcc
	s_cbranch_execz .LBB9_39
; %bb.36:                               ;   in Loop: Header=BB9_4 Depth=1
	flat_atomic_add v15, v[8:9], v26 offset:512 glc
                                        ; implicit-def: $vgpr14
	s_waitcnt vmcnt(0) lgkmcnt(0)
	v_cmp_lt_i32_e32 vcc, v15, v32
	s_and_saveexec_b64 s[20:21], vcc
	s_xor_b64 s[20:21], exec, s[20:21]
; %bb.37:                               ;   in Loop: Header=BB9_4 Depth=1
	s_mov_b64 s[18:19], exec
	v_xad_u32 v14, v15, -1, v7
; %bb.38:                               ;   in Loop: Header=BB9_4 Depth=1
	s_or_b64 exec, exec, s[20:21]
	s_and_b64 s[18:19], s[18:19], exec
.LBB9_39:                               ;   in Loop: Header=BB9_4 Depth=1
	s_or_b64 exec, exec, s[16:17]
	s_and_b64 s[16:17], s[18:19], exec
	s_andn2_saveexec_b64 s[14:15], s[14:15]
	s_cbranch_execz .LBB9_6
.LBB9_40:                               ;   in Loop: Header=BB9_4 Depth=1
	flat_atomic_add v14, v[8:9], v26 offset:384 glc
	s_or_b64 s[16:17], s[16:17], exec
	s_or_b64 exec, exec, s[14:15]
	s_and_saveexec_b64 s[14:15], s[16:17]
	s_cbranch_execnz .LBB9_7
	s_branch .LBB9_8
.LBB9_41:                               ;   in Loop: Header=BB9_4 Depth=1
	v_cmp_eq_u32_e32 vcc, v15, v33
	s_mov_b64 s[18:19], 0
                                        ; implicit-def: $vgpr14
	s_and_saveexec_b64 s[16:17], vcc
	s_cbranch_execz .LBB9_45
; %bb.42:                               ;   in Loop: Header=BB9_4 Depth=1
	flat_atomic_add v15, v[8:9], v26 offset:512 glc
                                        ; implicit-def: $vgpr14
	s_waitcnt vmcnt(0) lgkmcnt(0)
	v_cmp_lt_i32_e32 vcc, v15, v32
	s_and_saveexec_b64 s[20:21], vcc
	s_xor_b64 s[20:21], exec, s[20:21]
; %bb.43:                               ;   in Loop: Header=BB9_4 Depth=1
	s_mov_b64 s[18:19], exec
	v_xad_u32 v14, v15, -1, v7
; %bb.44:                               ;   in Loop: Header=BB9_4 Depth=1
	s_or_b64 exec, exec, s[20:21]
	s_and_b64 s[18:19], s[18:19], exec
.LBB9_45:                               ;   in Loop: Header=BB9_4 Depth=1
	s_or_b64 exec, exec, s[16:17]
	s_and_b64 s[16:17], s[18:19], exec
	s_andn2_saveexec_b64 s[14:15], s[14:15]
	s_cbranch_execz .LBB9_10
.LBB9_46:                               ;   in Loop: Header=BB9_4 Depth=1
	flat_atomic_add v14, v[8:9], v26 offset:384 glc
	s_or_b64 s[16:17], s[16:17], exec
	s_or_b64 exec, exec, s[14:15]
	s_and_saveexec_b64 s[14:15], s[16:17]
	s_cbranch_execnz .LBB9_11
	s_branch .LBB9_12
.LBB9_47:                               ;   in Loop: Header=BB9_4 Depth=1
	v_cmp_eq_u32_e32 vcc, v15, v33
	s_mov_b64 s[18:19], 0
                                        ; implicit-def: $vgpr14
	s_and_saveexec_b64 s[16:17], vcc
	s_cbranch_execz .LBB9_51
; %bb.48:                               ;   in Loop: Header=BB9_4 Depth=1
	flat_atomic_add v15, v[8:9], v26 offset:512 glc
                                        ; implicit-def: $vgpr14
	s_waitcnt vmcnt(0) lgkmcnt(0)
	v_cmp_lt_i32_e32 vcc, v15, v32
	s_and_saveexec_b64 s[20:21], vcc
	s_xor_b64 s[20:21], exec, s[20:21]
; %bb.49:                               ;   in Loop: Header=BB9_4 Depth=1
	s_mov_b64 s[18:19], exec
	v_xad_u32 v14, v15, -1, v7
; %bb.50:                               ;   in Loop: Header=BB9_4 Depth=1
	s_or_b64 exec, exec, s[20:21]
	s_and_b64 s[18:19], s[18:19], exec
.LBB9_51:                               ;   in Loop: Header=BB9_4 Depth=1
	s_or_b64 exec, exec, s[16:17]
	s_and_b64 s[16:17], s[18:19], exec
	s_andn2_saveexec_b64 s[14:15], s[14:15]
	s_cbranch_execz .LBB9_14
.LBB9_52:                               ;   in Loop: Header=BB9_4 Depth=1
	flat_atomic_add v14, v[8:9], v26 offset:384 glc
	s_or_b64 s[16:17], s[16:17], exec
	s_or_b64 exec, exec, s[14:15]
	s_and_saveexec_b64 s[14:15], s[16:17]
	s_cbranch_execnz .LBB9_15
	s_branch .LBB9_16
.LBB9_53:                               ;   in Loop: Header=BB9_4 Depth=1
	v_cmp_eq_u32_e32 vcc, v15, v33
	s_mov_b64 s[18:19], 0
                                        ; implicit-def: $vgpr14
	s_and_saveexec_b64 s[16:17], vcc
	s_cbranch_execz .LBB9_57
; %bb.54:                               ;   in Loop: Header=BB9_4 Depth=1
	flat_atomic_add v15, v[8:9], v26 offset:512 glc
                                        ; implicit-def: $vgpr14
	s_waitcnt vmcnt(0) lgkmcnt(0)
	v_cmp_lt_i32_e32 vcc, v15, v32
	s_and_saveexec_b64 s[20:21], vcc
	s_xor_b64 s[20:21], exec, s[20:21]
; %bb.55:                               ;   in Loop: Header=BB9_4 Depth=1
	s_mov_b64 s[18:19], exec
	v_xad_u32 v14, v15, -1, v7
; %bb.56:                               ;   in Loop: Header=BB9_4 Depth=1
	s_or_b64 exec, exec, s[20:21]
	s_and_b64 s[18:19], s[18:19], exec
.LBB9_57:                               ;   in Loop: Header=BB9_4 Depth=1
	s_or_b64 exec, exec, s[16:17]
	s_and_b64 s[16:17], s[18:19], exec
	s_andn2_saveexec_b64 s[14:15], s[14:15]
	s_cbranch_execz .LBB9_18
.LBB9_58:                               ;   in Loop: Header=BB9_4 Depth=1
	flat_atomic_add v14, v[8:9], v26 offset:384 glc
	s_or_b64 s[16:17], s[16:17], exec
	s_or_b64 exec, exec, s[14:15]
	s_and_saveexec_b64 s[14:15], s[16:17]
	s_cbranch_execnz .LBB9_19
	s_branch .LBB9_20
.LBB9_59:                               ;   in Loop: Header=BB9_4 Depth=1
	v_cmp_eq_u32_e32 vcc, v15, v33
	s_mov_b64 s[18:19], 0
                                        ; implicit-def: $vgpr14
	s_and_saveexec_b64 s[16:17], vcc
	s_cbranch_execz .LBB9_63
; %bb.60:                               ;   in Loop: Header=BB9_4 Depth=1
	flat_atomic_add v15, v[8:9], v26 offset:512 glc
                                        ; implicit-def: $vgpr14
	s_waitcnt vmcnt(0) lgkmcnt(0)
	v_cmp_lt_i32_e32 vcc, v15, v32
	s_and_saveexec_b64 s[20:21], vcc
	s_xor_b64 s[20:21], exec, s[20:21]
; %bb.61:                               ;   in Loop: Header=BB9_4 Depth=1
	s_mov_b64 s[18:19], exec
	v_xad_u32 v14, v15, -1, v7
; %bb.62:                               ;   in Loop: Header=BB9_4 Depth=1
	s_or_b64 exec, exec, s[20:21]
	s_and_b64 s[18:19], s[18:19], exec
.LBB9_63:                               ;   in Loop: Header=BB9_4 Depth=1
	s_or_b64 exec, exec, s[16:17]
	s_and_b64 s[16:17], s[18:19], exec
	s_andn2_saveexec_b64 s[14:15], s[14:15]
	s_cbranch_execz .LBB9_22
.LBB9_64:                               ;   in Loop: Header=BB9_4 Depth=1
	flat_atomic_add v14, v[8:9], v26 offset:384 glc
	s_or_b64 s[16:17], s[16:17], exec
	s_or_b64 exec, exec, s[14:15]
	s_and_saveexec_b64 s[14:15], s[16:17]
	s_cbranch_execnz .LBB9_23
	s_branch .LBB9_24
.LBB9_65:                               ;   in Loop: Header=BB9_4 Depth=1
	v_cmp_eq_u32_e32 vcc, v15, v33
	s_mov_b64 s[18:19], 0
                                        ; implicit-def: $vgpr14
	s_and_saveexec_b64 s[16:17], vcc
	s_cbranch_execz .LBB9_69
; %bb.66:                               ;   in Loop: Header=BB9_4 Depth=1
	flat_atomic_add v15, v[8:9], v26 offset:512 glc
                                        ; implicit-def: $vgpr14
	s_waitcnt vmcnt(0) lgkmcnt(0)
	v_cmp_lt_i32_e32 vcc, v15, v32
	s_and_saveexec_b64 s[20:21], vcc
	s_xor_b64 s[20:21], exec, s[20:21]
; %bb.67:                               ;   in Loop: Header=BB9_4 Depth=1
	s_mov_b64 s[18:19], exec
	v_xad_u32 v14, v15, -1, v7
; %bb.68:                               ;   in Loop: Header=BB9_4 Depth=1
	s_or_b64 exec, exec, s[20:21]
	s_and_b64 s[18:19], s[18:19], exec
.LBB9_69:                               ;   in Loop: Header=BB9_4 Depth=1
	s_or_b64 exec, exec, s[16:17]
	s_and_b64 s[16:17], s[18:19], exec
	s_andn2_saveexec_b64 s[14:15], s[14:15]
	s_cbranch_execz .LBB9_26
.LBB9_70:                               ;   in Loop: Header=BB9_4 Depth=1
	flat_atomic_add v14, v[8:9], v26 offset:384 glc
	s_or_b64 s[16:17], s[16:17], exec
	s_or_b64 exec, exec, s[14:15]
	s_and_saveexec_b64 s[14:15], s[16:17]
	s_cbranch_execnz .LBB9_27
	s_branch .LBB9_28
.LBB9_71:                               ;   in Loop: Header=BB9_4 Depth=1
	v_cmp_eq_u32_e32 vcc, v15, v33
	s_mov_b64 s[18:19], 0
                                        ; implicit-def: $vgpr14
	s_and_saveexec_b64 s[16:17], vcc
	s_cbranch_execz .LBB9_75
; %bb.72:                               ;   in Loop: Header=BB9_4 Depth=1
	flat_atomic_add v15, v[8:9], v26 offset:512 glc
                                        ; implicit-def: $vgpr14
	s_waitcnt vmcnt(0) lgkmcnt(0)
	v_cmp_lt_i32_e32 vcc, v15, v32
	s_and_saveexec_b64 s[20:21], vcc
	s_xor_b64 s[20:21], exec, s[20:21]
; %bb.73:                               ;   in Loop: Header=BB9_4 Depth=1
	s_mov_b64 s[18:19], exec
	v_xad_u32 v14, v15, -1, v7
; %bb.74:                               ;   in Loop: Header=BB9_4 Depth=1
	s_or_b64 exec, exec, s[20:21]
	s_and_b64 s[18:19], s[18:19], exec
.LBB9_75:                               ;   in Loop: Header=BB9_4 Depth=1
	s_or_b64 exec, exec, s[16:17]
	s_and_b64 s[16:17], s[18:19], exec
	s_andn2_saveexec_b64 s[14:15], s[14:15]
	s_cbranch_execz .LBB9_30
.LBB9_76:                               ;   in Loop: Header=BB9_4 Depth=1
	flat_atomic_add v14, v[8:9], v26 offset:384 glc
	s_or_b64 s[16:17], s[16:17], exec
	s_or_b64 exec, exec, s[14:15]
	s_and_saveexec_b64 s[14:15], s[16:17]
	s_cbranch_execnz .LBB9_31
	s_branch .LBB9_32
.LBB9_77:                               ;   in Loop: Header=BB9_4 Depth=1
	v_cmp_eq_u32_e32 vcc, v13, v33
	s_mov_b64 s[18:19], 0
                                        ; implicit-def: $vgpr14
	s_and_saveexec_b64 s[16:17], vcc
	s_cbranch_execz .LBB9_81
; %bb.78:                               ;   in Loop: Header=BB9_4 Depth=1
	flat_atomic_add v13, v[8:9], v26 offset:512 glc
                                        ; implicit-def: $vgpr14
	s_waitcnt vmcnt(0) lgkmcnt(0)
	v_cmp_lt_i32_e32 vcc, v13, v32
	s_and_saveexec_b64 s[20:21], vcc
	s_xor_b64 s[20:21], exec, s[20:21]
; %bb.79:                               ;   in Loop: Header=BB9_4 Depth=1
	s_mov_b64 s[18:19], exec
	v_xad_u32 v14, v13, -1, v7
; %bb.80:                               ;   in Loop: Header=BB9_4 Depth=1
	s_or_b64 exec, exec, s[20:21]
	s_and_b64 s[18:19], s[18:19], exec
.LBB9_81:                               ;   in Loop: Header=BB9_4 Depth=1
	s_or_b64 exec, exec, s[16:17]
	s_and_b64 s[16:17], s[18:19], exec
	s_andn2_saveexec_b64 s[14:15], s[14:15]
	s_cbranch_execz .LBB9_34
.LBB9_82:                               ;   in Loop: Header=BB9_4 Depth=1
	flat_atomic_add v14, v[8:9], v26 offset:384 glc
	s_or_b64 s[16:17], s[16:17], exec
	s_or_b64 exec, exec, s[14:15]
	s_and_saveexec_b64 s[14:15], s[16:17]
	s_cbranch_execz .LBB9_3
.LBB9_83:                               ;   in Loop: Header=BB9_4 Depth=1
	s_waitcnt vmcnt(0) lgkmcnt(0)
	v_ashrrev_i32_e32 v15, 31, v14
	v_lshlrev_b64 v[14:15], 2, v[14:15]
	v_add_co_u32_e32 v14, vcc, v4, v14
	v_addc_co_u32_e32 v15, vcc, v5, v15, vcc
	flat_store_dword v[14:15], v10
	s_branch .LBB9_3
.LBB9_84:
	s_or_b64 exec, exec, s[10:11]
.LBB9_85:
	s_or_b64 exec, exec, s[6:7]
	v_cmp_lt_i32_e32 vcc, v10, v6
	s_and_saveexec_b64 s[6:7], vcc
	s_cbranch_execz .LBB9_98
; %bb.86:
	s_mov_b32 s14, 0
	v_mov_b32_e32 v11, 0
	v_lshlrev_b32_e64 v16, v22, -1
	v_lshlrev_b64 v[12:13], 2, v[10:11]
	s_lshl_b32 s22, s13, 2
	s_mov_b64 s[10:11], 0
	v_bfrev_b32_e32 v11, -2
	v_mov_b32_e32 v17, 1
	v_mov_b32_e32 v18, s14
	s_branch .LBB9_88
.LBB9_87:                               ;   in Loop: Header=BB9_88 Depth=1
	s_or_b64 exec, exec, s[14:15]
	v_add_u32_e32 v10, s13, v10
	v_cmp_ge_i32_e32 vcc, v10, v6
	s_or_b64 s[10:11], vcc, s[10:11]
	v_add_co_u32_e32 v12, vcc, s22, v12
	v_addc_co_u32_e32 v13, vcc, v13, v18, vcc
	s_andn2_b64 exec, exec, s[10:11]
	s_cbranch_execz .LBB9_98
.LBB9_88:                               ; =>This Inner Loop Header: Depth=1
	s_waitcnt vmcnt(0) lgkmcnt(0)
	v_add_co_u32_e32 v14, vcc, v0, v12
	v_addc_co_u32_e32 v15, vcc, v1, v13, vcc
	flat_load_dword v20, v[14:15]
	v_add_co_u32_e32 v14, vcc, v2, v12
	v_addc_co_u32_e32 v15, vcc, v3, v13, vcc
	flat_load_dword v19, v[14:15]
	s_mov_b64 s[16:17], 0
	s_waitcnt vmcnt(0) lgkmcnt(0)
	v_cmp_gt_i32_e32 vcc, 0, v20
	v_cndmask_b32_e64 v14, v11, 0, vcc
	v_xor_b32_e32 v14, v14, v20
	v_and_b32_e32 v15, v14, v16
	v_cmp_ge_u32_e32 vcc, v15, v33
                                        ; implicit-def: $vgpr14
	s_and_saveexec_b64 s[14:15], vcc
	s_xor_b64 s[14:15], exec, s[14:15]
	s_cbranch_execnz .LBB9_91
; %bb.89:                               ;   in Loop: Header=BB9_88 Depth=1
	s_andn2_saveexec_b64 s[14:15], s[14:15]
	s_cbranch_execnz .LBB9_96
.LBB9_90:                               ;   in Loop: Header=BB9_88 Depth=1
	s_or_b64 exec, exec, s[14:15]
	s_and_saveexec_b64 s[14:15], s[16:17]
	s_cbranch_execz .LBB9_87
	s_branch .LBB9_97
.LBB9_91:                               ;   in Loop: Header=BB9_88 Depth=1
	v_cmp_eq_u32_e32 vcc, v15, v33
	s_mov_b64 s[18:19], 0
                                        ; implicit-def: $vgpr14
	s_and_saveexec_b64 s[16:17], vcc
	s_cbranch_execz .LBB9_95
; %bb.92:                               ;   in Loop: Header=BB9_88 Depth=1
	flat_atomic_add v15, v[8:9], v17 offset:512 glc
                                        ; implicit-def: $vgpr14
	s_waitcnt vmcnt(0) lgkmcnt(0)
	v_cmp_lt_i32_e32 vcc, v15, v32
	s_and_saveexec_b64 s[20:21], vcc
	s_xor_b64 s[20:21], exec, s[20:21]
; %bb.93:                               ;   in Loop: Header=BB9_88 Depth=1
	s_mov_b64 s[18:19], exec
	v_xad_u32 v14, v15, -1, v7
; %bb.94:                               ;   in Loop: Header=BB9_88 Depth=1
	s_or_b64 exec, exec, s[20:21]
	s_and_b64 s[18:19], s[18:19], exec
.LBB9_95:                               ;   in Loop: Header=BB9_88 Depth=1
	s_or_b64 exec, exec, s[16:17]
	s_and_b64 s[16:17], s[18:19], exec
	s_andn2_saveexec_b64 s[14:15], s[14:15]
	s_cbranch_execz .LBB9_90
.LBB9_96:                               ;   in Loop: Header=BB9_88 Depth=1
	flat_atomic_add v14, v[8:9], v17 offset:384 glc
	s_or_b64 s[16:17], s[16:17], exec
	s_or_b64 exec, exec, s[14:15]
	s_and_saveexec_b64 s[14:15], s[16:17]
	s_cbranch_execz .LBB9_87
.LBB9_97:                               ;   in Loop: Header=BB9_88 Depth=1
	s_waitcnt vmcnt(0) lgkmcnt(0)
	v_ashrrev_i32_e32 v15, 31, v14
	v_lshlrev_b64 v[14:15], 2, v[14:15]
	v_add_co_u32_e32 v14, vcc, v4, v14
	v_addc_co_u32_e32 v15, vcc, v5, v15, vcc
	flat_store_dword v[14:15], v19
	s_branch .LBB9_87
.LBB9_98:
	s_or_b64 exec, exec, s[6:7]
                                        ; implicit-def: $vgpr33
                                        ; implicit-def: $vgpr22
                                        ; implicit-def: $vgpr32
                                        ; implicit-def: $vgpr0
                                        ; implicit-def: $vgpr1
                                        ; implicit-def: $vgpr4
                                        ; implicit-def: $vgpr5
                                        ; implicit-def: $vgpr6
                                        ; implicit-def: $vgpr7
                                        ; implicit-def: $vgpr31
                                        ; implicit-def: $vgpr8_vgpr9
.LBB9_99:
	s_andn2_saveexec_b64 s[4:5], s[4:5]
	s_cbranch_execz .LBB9_318
; %bb.100:
	s_load_dword s6, s[8:9], 0x0
	v_mov_b32_e32 v3, 0
	v_and_b32_e32 v10, 15, v0
	v_mov_b32_e32 v11, v3
	v_sub_u32_e32 v13, 16, v10
	s_waitcnt lgkmcnt(0)
	s_cmp_lt_u32 s12, s6
	s_cselect_b32 s6, 12, 18
	s_add_u32 s6, s8, s6
	s_addc_u32 s7, s9, 0
	global_load_ushort v12, v3, s[6:7]
	v_lshrrev_b32_e32 v13, 2, v13
	v_cmp_ne_u64_e32 vcc, 0, v[10:11]
	v_cndmask_b32_e32 v10, 0, v13, vcc
	v_lshlrev_b32_e64 v34, v22, -1
	v_min_i32_e32 v22, v10, v6
	v_ashrrev_i32_e32 v23, 31, v22
	v_sub_u32_e32 v13, v6, v22
	v_lshlrev_b64 v[10:11], 2, v[22:23]
	s_waitcnt vmcnt(0)
	v_ashrrev_i32_e32 v14, 31, v13
	v_add_co_u32_e32 v23, vcc, v0, v10
	v_lshrrev_b32_e32 v10, 30, v14
	v_add_u32_e32 v10, v13, v10
	v_and_b32_e32 v2, 0x3ff, v31
	v_ashrrev_i32_e32 v24, 2, v10
	v_addc_co_u32_e32 v35, vcc, v1, v11, vcc
	v_ashrrev_i32_e32 v25, 31, v24
	s_mov_b64 s[6:7], 0
	v_mov_b32_e32 v26, v2
	v_and_b32_e32 v36, 0xffff, v12
	v_mad_u64_u32 v[28:29], s[8:9], v36, 3, v[2:3]
	v_lshlrev_b32_e32 v37, 2, v36
	v_cmp_lt_u64_e32 vcc, v[28:29], v[24:25]
	s_and_saveexec_b64 s[8:9], vcc
	s_cbranch_execz .LBB9_264
; %bb.101:
	v_mul_lo_u32 v38, v36, 3
	v_lshlrev_b32_e32 v39, 4, v36
	v_bfrev_b32_e32 v48, -2
	v_mov_b32_e32 v49, 1
	v_pk_mov_b32 v[26:27], v[2:3], v[2:3] op_sel:[0,1]
	s_branch .LBB9_103
.LBB9_102:                              ;   in Loop: Header=BB9_103 Depth=1
	s_or_b64 exec, exec, s[10:11]
	v_add_u32_e32 v26, v37, v26
	v_ashrrev_i32_e32 v27, 31, v26
	v_add_co_u32_e32 v28, vcc, v38, v26
	v_addc_co_u32_e32 v29, vcc, 0, v27, vcc
	v_cmp_ge_u64_e32 vcc, v[28:29], v[24:25]
	s_or_b64 s[6:7], vcc, s[6:7]
	s_andn2_b64 exec, exec, s[6:7]
	s_cbranch_execz .LBB9_263
.LBB9_103:                              ; =>This Inner Loop Header: Depth=1
	s_waitcnt vmcnt(0) lgkmcnt(0)
	v_lshlrev_b64 v[10:11], 4, v[26:27]
	v_add_co_u32_e32 v14, vcc, v23, v10
	v_addc_co_u32_e32 v15, vcc, v35, v11, vcc
	flat_load_dwordx4 v[10:13], v[14:15]
	v_add_co_u32_e32 v18, vcc, v14, v39
	v_addc_co_u32_e32 v19, vcc, 0, v15, vcc
	flat_load_dwordx4 v[14:17], v[18:19]
	s_mov_b64 s[12:13], 0
                                        ; implicit-def: $vgpr20
	s_waitcnt vmcnt(0) lgkmcnt(0)
	v_cmp_gt_i32_e32 vcc, 0, v10
	v_cndmask_b32_e64 v3, v48, 0, vcc
	v_xor_b32_e32 v3, v3, v10
	v_and_b32_e32 v3, v3, v34
	v_cmp_ge_u32_e32 vcc, v3, v33
	s_and_saveexec_b64 s[10:11], vcc
	s_xor_b64 s[10:11], exec, s[10:11]
	s_cbranch_execnz .LBB9_178
; %bb.104:                              ;   in Loop: Header=BB9_103 Depth=1
	s_andn2_saveexec_b64 s[10:11], s[10:11]
	s_cbranch_execnz .LBB9_183
.LBB9_105:                              ;   in Loop: Header=BB9_103 Depth=1
	s_or_b64 exec, exec, s[10:11]
	v_lshl_add_u32 v3, v26, 2, v22
	s_and_saveexec_b64 s[10:11], s[12:13]
	s_cbranch_execz .LBB9_107
.LBB9_106:                              ;   in Loop: Header=BB9_103 Depth=1
	s_waitcnt vmcnt(0) lgkmcnt(0)
	v_ashrrev_i32_e32 v21, 31, v20
	v_lshlrev_b64 v[20:21], 2, v[20:21]
	v_add_co_u32_e32 v20, vcc, v4, v20
	v_addc_co_u32_e32 v21, vcc, v5, v21, vcc
	flat_store_dword v[20:21], v3
.LBB9_107:                              ;   in Loop: Header=BB9_103 Depth=1
	s_or_b64 exec, exec, s[10:11]
	v_cmp_gt_i32_e32 vcc, 0, v11
	v_cndmask_b32_e64 v10, v48, 0, vcc
	v_xor_b32_e32 v10, v10, v11
	v_and_b32_e32 v11, v10, v34
	v_cmp_ge_u32_e32 vcc, v11, v33
	s_mov_b64 s[12:13], 0
                                        ; implicit-def: $vgpr10
	s_and_saveexec_b64 s[10:11], vcc
	s_xor_b64 s[10:11], exec, s[10:11]
	s_cbranch_execnz .LBB9_184
; %bb.108:                              ;   in Loop: Header=BB9_103 Depth=1
	s_andn2_saveexec_b64 s[10:11], s[10:11]
	s_cbranch_execnz .LBB9_189
.LBB9_109:                              ;   in Loop: Header=BB9_103 Depth=1
	s_or_b64 exec, exec, s[10:11]
	s_and_saveexec_b64 s[10:11], s[12:13]
	s_cbranch_execz .LBB9_111
.LBB9_110:                              ;   in Loop: Header=BB9_103 Depth=1
	s_waitcnt vmcnt(0) lgkmcnt(0)
	v_ashrrev_i32_e32 v11, 31, v10
	v_lshlrev_b64 v[10:11], 2, v[10:11]
	v_add_co_u32_e32 v10, vcc, v4, v10
	v_add_u32_e32 v20, 1, v3
	v_addc_co_u32_e32 v11, vcc, v5, v11, vcc
	flat_store_dword v[10:11], v20
.LBB9_111:                              ;   in Loop: Header=BB9_103 Depth=1
	s_or_b64 exec, exec, s[10:11]
	v_cmp_gt_i32_e32 vcc, 0, v12
	s_waitcnt vmcnt(0) lgkmcnt(0)
	v_cndmask_b32_e64 v10, v48, 0, vcc
	v_xor_b32_e32 v10, v10, v12
	v_and_b32_e32 v11, v10, v34
	v_cmp_ge_u32_e32 vcc, v11, v33
	s_mov_b64 s[12:13], 0
                                        ; implicit-def: $vgpr10
	s_and_saveexec_b64 s[10:11], vcc
	s_xor_b64 s[10:11], exec, s[10:11]
	s_cbranch_execnz .LBB9_190
; %bb.112:                              ;   in Loop: Header=BB9_103 Depth=1
	s_andn2_saveexec_b64 s[10:11], s[10:11]
	s_cbranch_execnz .LBB9_195
.LBB9_113:                              ;   in Loop: Header=BB9_103 Depth=1
	s_or_b64 exec, exec, s[10:11]
	s_and_saveexec_b64 s[10:11], s[12:13]
	s_cbranch_execz .LBB9_115
.LBB9_114:                              ;   in Loop: Header=BB9_103 Depth=1
	s_waitcnt vmcnt(0) lgkmcnt(0)
	v_ashrrev_i32_e32 v11, 31, v10
	v_lshlrev_b64 v[10:11], 2, v[10:11]
	v_add_co_u32_e32 v10, vcc, v4, v10
	v_add_u32_e32 v12, 2, v3
	v_addc_co_u32_e32 v11, vcc, v5, v11, vcc
	flat_store_dword v[10:11], v12
.LBB9_115:                              ;   in Loop: Header=BB9_103 Depth=1
	s_or_b64 exec, exec, s[10:11]
	v_cmp_gt_i32_e32 vcc, 0, v13
	s_waitcnt vmcnt(0) lgkmcnt(0)
	v_cndmask_b32_e64 v10, v48, 0, vcc
	v_xor_b32_e32 v10, v10, v13
	v_and_b32_e32 v11, v10, v34
	v_cmp_ge_u32_e32 vcc, v11, v33
	s_mov_b64 s[12:13], 0
                                        ; implicit-def: $vgpr10
	s_and_saveexec_b64 s[10:11], vcc
	s_xor_b64 s[10:11], exec, s[10:11]
	s_cbranch_execnz .LBB9_196
; %bb.116:                              ;   in Loop: Header=BB9_103 Depth=1
	s_andn2_saveexec_b64 s[10:11], s[10:11]
	s_cbranch_execnz .LBB9_201
.LBB9_117:                              ;   in Loop: Header=BB9_103 Depth=1
	s_or_b64 exec, exec, s[10:11]
	s_and_saveexec_b64 s[10:11], s[12:13]
	s_cbranch_execz .LBB9_119
.LBB9_118:                              ;   in Loop: Header=BB9_103 Depth=1
	s_waitcnt vmcnt(0) lgkmcnt(0)
	v_ashrrev_i32_e32 v11, 31, v10
	v_lshlrev_b64 v[10:11], 2, v[10:11]
	v_add_co_u32_e32 v10, vcc, v4, v10
	v_add_u32_e32 v3, 3, v3
	v_addc_co_u32_e32 v11, vcc, v5, v11, vcc
	flat_store_dword v[10:11], v3
.LBB9_119:                              ;   in Loop: Header=BB9_103 Depth=1
	s_or_b64 exec, exec, s[10:11]
	s_waitcnt vmcnt(0) lgkmcnt(0)
	v_add_co_u32_e32 v10, vcc, v18, v39
	v_addc_co_u32_e32 v11, vcc, 0, v19, vcc
	v_lshlrev_b64 v[12:13], 4, v[28:29]
	v_add_co_u32_e32 v12, vcc, v23, v12
	v_addc_co_u32_e32 v13, vcc, v35, v13, vcc
	flat_load_dwordx4 v[18:21], v[10:11]
	s_nop 0
	flat_load_dwordx4 v[10:13], v[12:13]
	v_cmp_gt_i32_e32 vcc, 0, v14
	v_cndmask_b32_e64 v3, v48, 0, vcc
	v_xor_b32_e32 v3, v3, v14
	v_and_b32_e32 v3, v3, v34
	v_cmp_ge_u32_e32 vcc, v3, v33
	s_mov_b64 s[12:13], 0
                                        ; implicit-def: $vgpr30
	s_and_saveexec_b64 s[10:11], vcc
	s_xor_b64 s[10:11], exec, s[10:11]
	s_cbranch_execz .LBB9_125
; %bb.120:                              ;   in Loop: Header=BB9_103 Depth=1
	v_cmp_eq_u32_e32 vcc, v3, v33
	s_mov_b64 s[14:15], 0
                                        ; implicit-def: $vgpr30
	s_and_saveexec_b64 s[12:13], vcc
	s_cbranch_execz .LBB9_124
; %bb.121:                              ;   in Loop: Header=BB9_103 Depth=1
	flat_atomic_add v3, v[8:9], v49 offset:512 glc
                                        ; implicit-def: $vgpr30
	s_waitcnt vmcnt(0) lgkmcnt(0)
	v_cmp_lt_i32_e32 vcc, v3, v32
	s_and_saveexec_b64 s[16:17], vcc
	s_xor_b64 s[16:17], exec, s[16:17]
; %bb.122:                              ;   in Loop: Header=BB9_103 Depth=1
	s_mov_b64 s[14:15], exec
	v_xad_u32 v30, v3, -1, v7
; %bb.123:                              ;   in Loop: Header=BB9_103 Depth=1
	s_or_b64 exec, exec, s[16:17]
	s_and_b64 s[14:15], s[14:15], exec
.LBB9_124:                              ;   in Loop: Header=BB9_103 Depth=1
	s_or_b64 exec, exec, s[12:13]
	s_and_b64 s[12:13], s[14:15], exec
.LBB9_125:                              ;   in Loop: Header=BB9_103 Depth=1
	s_andn2_saveexec_b64 s[10:11], s[10:11]
	s_cbranch_execz .LBB9_127
; %bb.126:                              ;   in Loop: Header=BB9_103 Depth=1
	flat_atomic_add v30, v[8:9], v49 offset:384 glc
	s_or_b64 s[12:13], s[12:13], exec
.LBB9_127:                              ;   in Loop: Header=BB9_103 Depth=1
	s_or_b64 exec, exec, s[10:11]
	v_add_co_u32_e32 v3, vcc, v26, v36
	v_lshl_add_u32 v27, v3, 2, v22
	s_and_saveexec_b64 s[10:11], s[12:13]
	s_cbranch_execz .LBB9_129
; %bb.128:                              ;   in Loop: Header=BB9_103 Depth=1
	s_waitcnt vmcnt(0) lgkmcnt(0)
	v_ashrrev_i32_e32 v31, 31, v30
	v_lshlrev_b64 v[30:31], 2, v[30:31]
	v_add_co_u32_e32 v30, vcc, v4, v30
	v_addc_co_u32_e32 v31, vcc, v5, v31, vcc
	flat_store_dword v[30:31], v27
.LBB9_129:                              ;   in Loop: Header=BB9_103 Depth=1
	s_or_b64 exec, exec, s[10:11]
	v_cmp_gt_i32_e32 vcc, 0, v15
	v_cndmask_b32_e64 v14, v48, 0, vcc
	v_xor_b32_e32 v14, v14, v15
	v_and_b32_e32 v15, v14, v34
	v_cmp_ge_u32_e32 vcc, v15, v33
	s_mov_b64 s[12:13], 0
                                        ; implicit-def: $vgpr14
	s_and_saveexec_b64 s[10:11], vcc
	s_xor_b64 s[10:11], exec, s[10:11]
	s_cbranch_execnz .LBB9_202
; %bb.130:                              ;   in Loop: Header=BB9_103 Depth=1
	s_andn2_saveexec_b64 s[10:11], s[10:11]
	s_cbranch_execnz .LBB9_207
.LBB9_131:                              ;   in Loop: Header=BB9_103 Depth=1
	s_or_b64 exec, exec, s[10:11]
	s_and_saveexec_b64 s[10:11], s[12:13]
	s_cbranch_execz .LBB9_133
.LBB9_132:                              ;   in Loop: Header=BB9_103 Depth=1
	s_waitcnt vmcnt(0) lgkmcnt(0)
	v_ashrrev_i32_e32 v15, 31, v14
	v_lshlrev_b64 v[14:15], 2, v[14:15]
	v_add_co_u32_e32 v14, vcc, v4, v14
	v_add_u32_e32 v29, 1, v27
	v_addc_co_u32_e32 v15, vcc, v5, v15, vcc
	flat_store_dword v[14:15], v29
.LBB9_133:                              ;   in Loop: Header=BB9_103 Depth=1
	s_or_b64 exec, exec, s[10:11]
	v_cmp_gt_i32_e32 vcc, 0, v16
	s_waitcnt vmcnt(0) lgkmcnt(0)
	v_cndmask_b32_e64 v14, v48, 0, vcc
	v_xor_b32_e32 v14, v14, v16
	v_and_b32_e32 v15, v14, v34
	v_cmp_ge_u32_e32 vcc, v15, v33
	s_mov_b64 s[12:13], 0
                                        ; implicit-def: $vgpr14
	s_and_saveexec_b64 s[10:11], vcc
	s_xor_b64 s[10:11], exec, s[10:11]
	s_cbranch_execnz .LBB9_208
; %bb.134:                              ;   in Loop: Header=BB9_103 Depth=1
	s_andn2_saveexec_b64 s[10:11], s[10:11]
	s_cbranch_execnz .LBB9_213
.LBB9_135:                              ;   in Loop: Header=BB9_103 Depth=1
	s_or_b64 exec, exec, s[10:11]
	s_and_saveexec_b64 s[10:11], s[12:13]
	s_cbranch_execz .LBB9_137
.LBB9_136:                              ;   in Loop: Header=BB9_103 Depth=1
	s_waitcnt vmcnt(0) lgkmcnt(0)
	v_ashrrev_i32_e32 v15, 31, v14
	v_lshlrev_b64 v[14:15], 2, v[14:15]
	v_add_co_u32_e32 v14, vcc, v4, v14
	v_add_u32_e32 v16, 2, v27
	v_addc_co_u32_e32 v15, vcc, v5, v15, vcc
	flat_store_dword v[14:15], v16
.LBB9_137:                              ;   in Loop: Header=BB9_103 Depth=1
	s_or_b64 exec, exec, s[10:11]
	v_cmp_gt_i32_e32 vcc, 0, v17
	s_waitcnt vmcnt(0) lgkmcnt(0)
	v_cndmask_b32_e64 v14, v48, 0, vcc
	v_xor_b32_e32 v14, v14, v17
	v_and_b32_e32 v15, v14, v34
	v_cmp_ge_u32_e32 vcc, v15, v33
	s_mov_b64 s[12:13], 0
                                        ; implicit-def: $vgpr14
	s_and_saveexec_b64 s[10:11], vcc
	s_xor_b64 s[10:11], exec, s[10:11]
	s_cbranch_execnz .LBB9_214
; %bb.138:                              ;   in Loop: Header=BB9_103 Depth=1
	s_andn2_saveexec_b64 s[10:11], s[10:11]
	s_cbranch_execnz .LBB9_219
.LBB9_139:                              ;   in Loop: Header=BB9_103 Depth=1
	s_or_b64 exec, exec, s[10:11]
	s_and_saveexec_b64 s[10:11], s[12:13]
	s_cbranch_execz .LBB9_141
.LBB9_140:                              ;   in Loop: Header=BB9_103 Depth=1
	s_waitcnt vmcnt(0) lgkmcnt(0)
	v_ashrrev_i32_e32 v15, 31, v14
	v_lshlrev_b64 v[14:15], 2, v[14:15]
	v_add_co_u32_e32 v14, vcc, v4, v14
	v_add_u32_e32 v16, 3, v27
	v_addc_co_u32_e32 v15, vcc, v5, v15, vcc
	flat_store_dword v[14:15], v16
.LBB9_141:                              ;   in Loop: Header=BB9_103 Depth=1
	s_or_b64 exec, exec, s[10:11]
	v_cmp_gt_i32_e32 vcc, 0, v18
	s_waitcnt vmcnt(0) lgkmcnt(0)
	v_cndmask_b32_e64 v14, v48, 0, vcc
	v_xor_b32_e32 v14, v14, v18
	v_and_b32_e32 v15, v14, v34
	v_cmp_ge_u32_e32 vcc, v15, v33
	s_mov_b64 s[12:13], 0
                                        ; implicit-def: $vgpr14
	s_and_saveexec_b64 s[10:11], vcc
	s_xor_b64 s[10:11], exec, s[10:11]
	s_cbranch_execz .LBB9_147
; %bb.142:                              ;   in Loop: Header=BB9_103 Depth=1
	v_cmp_eq_u32_e32 vcc, v15, v33
	s_mov_b64 s[14:15], 0
                                        ; implicit-def: $vgpr14
	s_and_saveexec_b64 s[12:13], vcc
	s_cbranch_execz .LBB9_146
; %bb.143:                              ;   in Loop: Header=BB9_103 Depth=1
	flat_atomic_add v15, v[8:9], v49 offset:512 glc
                                        ; implicit-def: $vgpr14
	s_waitcnt vmcnt(0) lgkmcnt(0)
	v_cmp_lt_i32_e32 vcc, v15, v32
	s_and_saveexec_b64 s[16:17], vcc
	s_xor_b64 s[16:17], exec, s[16:17]
; %bb.144:                              ;   in Loop: Header=BB9_103 Depth=1
	s_mov_b64 s[14:15], exec
	v_xad_u32 v14, v15, -1, v7
; %bb.145:                              ;   in Loop: Header=BB9_103 Depth=1
	s_or_b64 exec, exec, s[16:17]
	s_and_b64 s[14:15], s[14:15], exec
.LBB9_146:                              ;   in Loop: Header=BB9_103 Depth=1
	s_or_b64 exec, exec, s[12:13]
	s_and_b64 s[12:13], s[14:15], exec
.LBB9_147:                              ;   in Loop: Header=BB9_103 Depth=1
	s_andn2_saveexec_b64 s[10:11], s[10:11]
	s_cbranch_execz .LBB9_149
; %bb.148:                              ;   in Loop: Header=BB9_103 Depth=1
	flat_atomic_add v14, v[8:9], v49 offset:384 glc
	s_or_b64 s[12:13], s[12:13], exec
.LBB9_149:                              ;   in Loop: Header=BB9_103 Depth=1
	s_or_b64 exec, exec, s[10:11]
	v_add_u32_e32 v3, v3, v36
	v_lshl_add_u32 v3, v3, 2, v22
	s_and_saveexec_b64 s[10:11], s[12:13]
	s_cbranch_execz .LBB9_151
; %bb.150:                              ;   in Loop: Header=BB9_103 Depth=1
	s_waitcnt vmcnt(0) lgkmcnt(0)
	v_ashrrev_i32_e32 v15, 31, v14
	v_lshlrev_b64 v[14:15], 2, v[14:15]
	v_add_co_u32_e32 v14, vcc, v4, v14
	v_addc_co_u32_e32 v15, vcc, v5, v15, vcc
	flat_store_dword v[14:15], v3
.LBB9_151:                              ;   in Loop: Header=BB9_103 Depth=1
	s_or_b64 exec, exec, s[10:11]
	v_cmp_gt_i32_e32 vcc, 0, v19
	s_waitcnt vmcnt(0) lgkmcnt(0)
	v_cndmask_b32_e64 v14, v48, 0, vcc
	v_xor_b32_e32 v14, v14, v19
	v_and_b32_e32 v15, v14, v34
	v_cmp_ge_u32_e32 vcc, v15, v33
	s_mov_b64 s[12:13], 0
                                        ; implicit-def: $vgpr14
	s_and_saveexec_b64 s[10:11], vcc
	s_xor_b64 s[10:11], exec, s[10:11]
	s_cbranch_execnz .LBB9_220
; %bb.152:                              ;   in Loop: Header=BB9_103 Depth=1
	s_andn2_saveexec_b64 s[10:11], s[10:11]
	s_cbranch_execnz .LBB9_225
.LBB9_153:                              ;   in Loop: Header=BB9_103 Depth=1
	s_or_b64 exec, exec, s[10:11]
	s_and_saveexec_b64 s[10:11], s[12:13]
	s_cbranch_execz .LBB9_155
.LBB9_154:                              ;   in Loop: Header=BB9_103 Depth=1
	s_waitcnt vmcnt(0) lgkmcnt(0)
	v_ashrrev_i32_e32 v15, 31, v14
	v_lshlrev_b64 v[14:15], 2, v[14:15]
	v_add_co_u32_e32 v14, vcc, v4, v14
	v_add_u32_e32 v16, 1, v3
	v_addc_co_u32_e32 v15, vcc, v5, v15, vcc
	flat_store_dword v[14:15], v16
.LBB9_155:                              ;   in Loop: Header=BB9_103 Depth=1
	s_or_b64 exec, exec, s[10:11]
	v_cmp_gt_i32_e32 vcc, 0, v20
	s_waitcnt vmcnt(0) lgkmcnt(0)
	v_cndmask_b32_e64 v14, v48, 0, vcc
	v_xor_b32_e32 v14, v14, v20
	v_and_b32_e32 v15, v14, v34
	v_cmp_ge_u32_e32 vcc, v15, v33
	s_mov_b64 s[12:13], 0
                                        ; implicit-def: $vgpr14
	s_and_saveexec_b64 s[10:11], vcc
	s_xor_b64 s[10:11], exec, s[10:11]
	s_cbranch_execnz .LBB9_226
; %bb.156:                              ;   in Loop: Header=BB9_103 Depth=1
	s_andn2_saveexec_b64 s[10:11], s[10:11]
	s_cbranch_execnz .LBB9_231
.LBB9_157:                              ;   in Loop: Header=BB9_103 Depth=1
	s_or_b64 exec, exec, s[10:11]
	s_and_saveexec_b64 s[10:11], s[12:13]
	s_cbranch_execz .LBB9_159
.LBB9_158:                              ;   in Loop: Header=BB9_103 Depth=1
	s_waitcnt vmcnt(0) lgkmcnt(0)
	v_ashrrev_i32_e32 v15, 31, v14
	v_lshlrev_b64 v[14:15], 2, v[14:15]
	v_add_co_u32_e32 v14, vcc, v4, v14
	v_add_u32_e32 v16, 2, v3
	v_addc_co_u32_e32 v15, vcc, v5, v15, vcc
	flat_store_dword v[14:15], v16
.LBB9_159:                              ;   in Loop: Header=BB9_103 Depth=1
	s_or_b64 exec, exec, s[10:11]
	v_cmp_gt_i32_e32 vcc, 0, v21
	s_waitcnt vmcnt(0) lgkmcnt(0)
	v_cndmask_b32_e64 v14, v48, 0, vcc
	v_xor_b32_e32 v14, v14, v21
	v_and_b32_e32 v15, v14, v34
	v_cmp_ge_u32_e32 vcc, v15, v33
	s_mov_b64 s[12:13], 0
                                        ; implicit-def: $vgpr14
	s_and_saveexec_b64 s[10:11], vcc
	s_xor_b64 s[10:11], exec, s[10:11]
	s_cbranch_execnz .LBB9_232
; %bb.160:                              ;   in Loop: Header=BB9_103 Depth=1
	s_andn2_saveexec_b64 s[10:11], s[10:11]
	s_cbranch_execnz .LBB9_237
.LBB9_161:                              ;   in Loop: Header=BB9_103 Depth=1
	s_or_b64 exec, exec, s[10:11]
	s_and_saveexec_b64 s[10:11], s[12:13]
	s_cbranch_execz .LBB9_163
.LBB9_162:                              ;   in Loop: Header=BB9_103 Depth=1
	s_waitcnt vmcnt(0) lgkmcnt(0)
	v_ashrrev_i32_e32 v15, 31, v14
	v_lshlrev_b64 v[14:15], 2, v[14:15]
	v_add_co_u32_e32 v14, vcc, v4, v14
	v_add_u32_e32 v3, 3, v3
	v_addc_co_u32_e32 v15, vcc, v5, v15, vcc
	flat_store_dword v[14:15], v3
.LBB9_163:                              ;   in Loop: Header=BB9_103 Depth=1
	s_or_b64 exec, exec, s[10:11]
	v_cmp_gt_i32_e32 vcc, 0, v10
	v_cndmask_b32_e64 v3, v48, 0, vcc
	v_xor_b32_e32 v3, v3, v10
	v_and_b32_e32 v3, v3, v34
	v_cmp_ge_u32_e32 vcc, v3, v33
	s_mov_b64 s[12:13], 0
                                        ; implicit-def: $vgpr14
	s_and_saveexec_b64 s[10:11], vcc
	s_xor_b64 s[10:11], exec, s[10:11]
	s_cbranch_execnz .LBB9_238
; %bb.164:                              ;   in Loop: Header=BB9_103 Depth=1
	s_andn2_saveexec_b64 s[10:11], s[10:11]
	s_cbranch_execnz .LBB9_243
.LBB9_165:                              ;   in Loop: Header=BB9_103 Depth=1
	s_or_b64 exec, exec, s[10:11]
	v_lshl_add_u32 v3, v28, 2, v22
	s_and_saveexec_b64 s[10:11], s[12:13]
	s_cbranch_execz .LBB9_167
.LBB9_166:                              ;   in Loop: Header=BB9_103 Depth=1
	s_waitcnt vmcnt(0) lgkmcnt(0)
	v_ashrrev_i32_e32 v15, 31, v14
	v_lshlrev_b64 v[14:15], 2, v[14:15]
	v_add_co_u32_e32 v14, vcc, v4, v14
	v_addc_co_u32_e32 v15, vcc, v5, v15, vcc
	flat_store_dword v[14:15], v3
.LBB9_167:                              ;   in Loop: Header=BB9_103 Depth=1
	s_or_b64 exec, exec, s[10:11]
	v_cmp_gt_i32_e32 vcc, 0, v11
	v_cndmask_b32_e64 v10, v48, 0, vcc
	v_xor_b32_e32 v10, v10, v11
	v_and_b32_e32 v11, v10, v34
	v_cmp_ge_u32_e32 vcc, v11, v33
	s_mov_b64 s[12:13], 0
                                        ; implicit-def: $vgpr10
	s_and_saveexec_b64 s[10:11], vcc
	s_xor_b64 s[10:11], exec, s[10:11]
	s_cbranch_execnz .LBB9_244
; %bb.168:                              ;   in Loop: Header=BB9_103 Depth=1
	s_andn2_saveexec_b64 s[10:11], s[10:11]
	s_cbranch_execnz .LBB9_249
.LBB9_169:                              ;   in Loop: Header=BB9_103 Depth=1
	s_or_b64 exec, exec, s[10:11]
	s_and_saveexec_b64 s[10:11], s[12:13]
	s_cbranch_execz .LBB9_171
.LBB9_170:                              ;   in Loop: Header=BB9_103 Depth=1
	s_waitcnt vmcnt(0) lgkmcnt(0)
	v_ashrrev_i32_e32 v11, 31, v10
	v_lshlrev_b64 v[10:11], 2, v[10:11]
	v_add_co_u32_e32 v10, vcc, v4, v10
	v_add_u32_e32 v14, 1, v3
	v_addc_co_u32_e32 v11, vcc, v5, v11, vcc
	flat_store_dword v[10:11], v14
.LBB9_171:                              ;   in Loop: Header=BB9_103 Depth=1
	s_or_b64 exec, exec, s[10:11]
	v_cmp_gt_i32_e32 vcc, 0, v12
	s_waitcnt vmcnt(0) lgkmcnt(0)
	v_cndmask_b32_e64 v10, v48, 0, vcc
	v_xor_b32_e32 v10, v10, v12
	v_and_b32_e32 v11, v10, v34
	v_cmp_ge_u32_e32 vcc, v11, v33
	s_mov_b64 s[12:13], 0
                                        ; implicit-def: $vgpr10
	s_and_saveexec_b64 s[10:11], vcc
	s_xor_b64 s[10:11], exec, s[10:11]
	s_cbranch_execnz .LBB9_250
; %bb.172:                              ;   in Loop: Header=BB9_103 Depth=1
	s_andn2_saveexec_b64 s[10:11], s[10:11]
	s_cbranch_execnz .LBB9_255
.LBB9_173:                              ;   in Loop: Header=BB9_103 Depth=1
	s_or_b64 exec, exec, s[10:11]
	s_and_saveexec_b64 s[10:11], s[12:13]
	s_cbranch_execz .LBB9_175
.LBB9_174:                              ;   in Loop: Header=BB9_103 Depth=1
	s_waitcnt vmcnt(0) lgkmcnt(0)
	v_ashrrev_i32_e32 v11, 31, v10
	v_lshlrev_b64 v[10:11], 2, v[10:11]
	v_add_co_u32_e32 v10, vcc, v4, v10
	v_add_u32_e32 v12, 2, v3
	v_addc_co_u32_e32 v11, vcc, v5, v11, vcc
	flat_store_dword v[10:11], v12
.LBB9_175:                              ;   in Loop: Header=BB9_103 Depth=1
	s_or_b64 exec, exec, s[10:11]
	v_cmp_gt_i32_e32 vcc, 0, v13
	s_waitcnt vmcnt(0) lgkmcnt(0)
	v_cndmask_b32_e64 v10, v48, 0, vcc
	v_xor_b32_e32 v10, v10, v13
	v_and_b32_e32 v11, v10, v34
	v_cmp_ge_u32_e32 vcc, v11, v33
	s_mov_b64 s[12:13], 0
                                        ; implicit-def: $vgpr10
	s_and_saveexec_b64 s[10:11], vcc
	s_xor_b64 s[10:11], exec, s[10:11]
	s_cbranch_execnz .LBB9_256
; %bb.176:                              ;   in Loop: Header=BB9_103 Depth=1
	s_andn2_saveexec_b64 s[10:11], s[10:11]
	s_cbranch_execnz .LBB9_261
.LBB9_177:                              ;   in Loop: Header=BB9_103 Depth=1
	s_or_b64 exec, exec, s[10:11]
	s_and_saveexec_b64 s[10:11], s[12:13]
	s_cbranch_execz .LBB9_102
	s_branch .LBB9_262
.LBB9_178:                              ;   in Loop: Header=BB9_103 Depth=1
	v_cmp_eq_u32_e32 vcc, v3, v33
	s_mov_b64 s[14:15], 0
                                        ; implicit-def: $vgpr20
	s_and_saveexec_b64 s[12:13], vcc
	s_cbranch_execz .LBB9_182
; %bb.179:                              ;   in Loop: Header=BB9_103 Depth=1
	flat_atomic_add v3, v[8:9], v49 offset:512 glc
                                        ; implicit-def: $vgpr20
	s_waitcnt vmcnt(0) lgkmcnt(0)
	v_cmp_lt_i32_e32 vcc, v3, v32
	s_and_saveexec_b64 s[16:17], vcc
	s_xor_b64 s[16:17], exec, s[16:17]
; %bb.180:                              ;   in Loop: Header=BB9_103 Depth=1
	s_mov_b64 s[14:15], exec
	v_xad_u32 v20, v3, -1, v7
; %bb.181:                              ;   in Loop: Header=BB9_103 Depth=1
	s_or_b64 exec, exec, s[16:17]
	s_and_b64 s[14:15], s[14:15], exec
.LBB9_182:                              ;   in Loop: Header=BB9_103 Depth=1
	s_or_b64 exec, exec, s[12:13]
	s_and_b64 s[12:13], s[14:15], exec
	s_andn2_saveexec_b64 s[10:11], s[10:11]
	s_cbranch_execz .LBB9_105
.LBB9_183:                              ;   in Loop: Header=BB9_103 Depth=1
	flat_atomic_add v20, v[8:9], v49 offset:384 glc
	s_or_b64 s[12:13], s[12:13], exec
	s_or_b64 exec, exec, s[10:11]
	v_lshl_add_u32 v3, v26, 2, v22
	s_and_saveexec_b64 s[10:11], s[12:13]
	s_cbranch_execnz .LBB9_106
	s_branch .LBB9_107
.LBB9_184:                              ;   in Loop: Header=BB9_103 Depth=1
	v_cmp_eq_u32_e32 vcc, v11, v33
	s_mov_b64 s[14:15], 0
                                        ; implicit-def: $vgpr10
	s_and_saveexec_b64 s[12:13], vcc
	s_cbranch_execz .LBB9_188
; %bb.185:                              ;   in Loop: Header=BB9_103 Depth=1
	flat_atomic_add v11, v[8:9], v49 offset:512 glc
                                        ; implicit-def: $vgpr10
	s_waitcnt vmcnt(0) lgkmcnt(0)
	v_cmp_lt_i32_e32 vcc, v11, v32
	s_and_saveexec_b64 s[16:17], vcc
; %bb.186:                              ;   in Loop: Header=BB9_103 Depth=1
	s_mov_b64 s[14:15], exec
	v_xad_u32 v10, v11, -1, v7
; %bb.187:                              ;   in Loop: Header=BB9_103 Depth=1
	s_or_b64 exec, exec, s[16:17]
	s_and_b64 s[14:15], s[14:15], exec
.LBB9_188:                              ;   in Loop: Header=BB9_103 Depth=1
	s_or_b64 exec, exec, s[12:13]
	s_and_b64 s[12:13], s[14:15], exec
	s_andn2_saveexec_b64 s[10:11], s[10:11]
	s_cbranch_execz .LBB9_109
.LBB9_189:                              ;   in Loop: Header=BB9_103 Depth=1
	flat_atomic_add v10, v[8:9], v49 offset:384 glc
	s_or_b64 s[12:13], s[12:13], exec
	s_or_b64 exec, exec, s[10:11]
	s_and_saveexec_b64 s[10:11], s[12:13]
	s_cbranch_execnz .LBB9_110
	s_branch .LBB9_111
.LBB9_190:                              ;   in Loop: Header=BB9_103 Depth=1
	v_cmp_eq_u32_e32 vcc, v11, v33
	s_mov_b64 s[14:15], 0
                                        ; implicit-def: $vgpr10
	s_and_saveexec_b64 s[12:13], vcc
	s_cbranch_execz .LBB9_194
; %bb.191:                              ;   in Loop: Header=BB9_103 Depth=1
	flat_atomic_add v11, v[8:9], v49 offset:512 glc
                                        ; implicit-def: $vgpr10
	s_waitcnt vmcnt(0) lgkmcnt(0)
	v_cmp_lt_i32_e32 vcc, v11, v32
	s_and_saveexec_b64 s[16:17], vcc
; %bb.192:                              ;   in Loop: Header=BB9_103 Depth=1
	s_mov_b64 s[14:15], exec
	v_xad_u32 v10, v11, -1, v7
; %bb.193:                              ;   in Loop: Header=BB9_103 Depth=1
	s_or_b64 exec, exec, s[16:17]
	s_and_b64 s[14:15], s[14:15], exec
.LBB9_194:                              ;   in Loop: Header=BB9_103 Depth=1
	s_or_b64 exec, exec, s[12:13]
	s_and_b64 s[12:13], s[14:15], exec
	s_andn2_saveexec_b64 s[10:11], s[10:11]
	s_cbranch_execz .LBB9_113
.LBB9_195:                              ;   in Loop: Header=BB9_103 Depth=1
	flat_atomic_add v10, v[8:9], v49 offset:384 glc
	s_or_b64 s[12:13], s[12:13], exec
	s_or_b64 exec, exec, s[10:11]
	s_and_saveexec_b64 s[10:11], s[12:13]
	s_cbranch_execnz .LBB9_114
	s_branch .LBB9_115
.LBB9_196:                              ;   in Loop: Header=BB9_103 Depth=1
	v_cmp_eq_u32_e32 vcc, v11, v33
	s_mov_b64 s[14:15], 0
                                        ; implicit-def: $vgpr10
	s_and_saveexec_b64 s[12:13], vcc
	s_cbranch_execz .LBB9_200
; %bb.197:                              ;   in Loop: Header=BB9_103 Depth=1
	flat_atomic_add v11, v[8:9], v49 offset:512 glc
                                        ; implicit-def: $vgpr10
	s_waitcnt vmcnt(0) lgkmcnt(0)
	v_cmp_lt_i32_e32 vcc, v11, v32
	s_and_saveexec_b64 s[16:17], vcc
; %bb.198:                              ;   in Loop: Header=BB9_103 Depth=1
	s_mov_b64 s[14:15], exec
	v_xad_u32 v10, v11, -1, v7
; %bb.199:                              ;   in Loop: Header=BB9_103 Depth=1
	s_or_b64 exec, exec, s[16:17]
	s_and_b64 s[14:15], s[14:15], exec
.LBB9_200:                              ;   in Loop: Header=BB9_103 Depth=1
	s_or_b64 exec, exec, s[12:13]
	s_and_b64 s[12:13], s[14:15], exec
	s_andn2_saveexec_b64 s[10:11], s[10:11]
	s_cbranch_execz .LBB9_117
.LBB9_201:                              ;   in Loop: Header=BB9_103 Depth=1
	flat_atomic_add v10, v[8:9], v49 offset:384 glc
	s_or_b64 s[12:13], s[12:13], exec
	s_or_b64 exec, exec, s[10:11]
	s_and_saveexec_b64 s[10:11], s[12:13]
	s_cbranch_execnz .LBB9_118
	s_branch .LBB9_119
.LBB9_202:                              ;   in Loop: Header=BB9_103 Depth=1
	v_cmp_eq_u32_e32 vcc, v15, v33
	s_mov_b64 s[14:15], 0
                                        ; implicit-def: $vgpr14
	s_and_saveexec_b64 s[12:13], vcc
	s_cbranch_execz .LBB9_206
; %bb.203:                              ;   in Loop: Header=BB9_103 Depth=1
	flat_atomic_add v15, v[8:9], v49 offset:512 glc
                                        ; implicit-def: $vgpr14
	s_waitcnt vmcnt(0) lgkmcnt(0)
	v_cmp_lt_i32_e32 vcc, v15, v32
	s_and_saveexec_b64 s[16:17], vcc
; %bb.204:                              ;   in Loop: Header=BB9_103 Depth=1
	s_mov_b64 s[14:15], exec
	v_xad_u32 v14, v15, -1, v7
; %bb.205:                              ;   in Loop: Header=BB9_103 Depth=1
	s_or_b64 exec, exec, s[16:17]
	s_and_b64 s[14:15], s[14:15], exec
.LBB9_206:                              ;   in Loop: Header=BB9_103 Depth=1
	s_or_b64 exec, exec, s[12:13]
	s_and_b64 s[12:13], s[14:15], exec
	s_andn2_saveexec_b64 s[10:11], s[10:11]
	s_cbranch_execz .LBB9_131
.LBB9_207:                              ;   in Loop: Header=BB9_103 Depth=1
	flat_atomic_add v14, v[8:9], v49 offset:384 glc
	s_or_b64 s[12:13], s[12:13], exec
	s_or_b64 exec, exec, s[10:11]
	s_and_saveexec_b64 s[10:11], s[12:13]
	s_cbranch_execnz .LBB9_132
	s_branch .LBB9_133
.LBB9_208:                              ;   in Loop: Header=BB9_103 Depth=1
	v_cmp_eq_u32_e32 vcc, v15, v33
	s_mov_b64 s[14:15], 0
                                        ; implicit-def: $vgpr14
	s_and_saveexec_b64 s[12:13], vcc
	s_cbranch_execz .LBB9_212
; %bb.209:                              ;   in Loop: Header=BB9_103 Depth=1
	flat_atomic_add v15, v[8:9], v49 offset:512 glc
                                        ; implicit-def: $vgpr14
	s_waitcnt vmcnt(0) lgkmcnt(0)
	v_cmp_lt_i32_e32 vcc, v15, v32
	s_and_saveexec_b64 s[16:17], vcc
; %bb.210:                              ;   in Loop: Header=BB9_103 Depth=1
	s_mov_b64 s[14:15], exec
	v_xad_u32 v14, v15, -1, v7
; %bb.211:                              ;   in Loop: Header=BB9_103 Depth=1
	s_or_b64 exec, exec, s[16:17]
	s_and_b64 s[14:15], s[14:15], exec
.LBB9_212:                              ;   in Loop: Header=BB9_103 Depth=1
	s_or_b64 exec, exec, s[12:13]
	s_and_b64 s[12:13], s[14:15], exec
	s_andn2_saveexec_b64 s[10:11], s[10:11]
	s_cbranch_execz .LBB9_135
.LBB9_213:                              ;   in Loop: Header=BB9_103 Depth=1
	flat_atomic_add v14, v[8:9], v49 offset:384 glc
	s_or_b64 s[12:13], s[12:13], exec
	s_or_b64 exec, exec, s[10:11]
	s_and_saveexec_b64 s[10:11], s[12:13]
	s_cbranch_execnz .LBB9_136
	s_branch .LBB9_137
.LBB9_214:                              ;   in Loop: Header=BB9_103 Depth=1
	v_cmp_eq_u32_e32 vcc, v15, v33
	s_mov_b64 s[14:15], 0
                                        ; implicit-def: $vgpr14
	s_and_saveexec_b64 s[12:13], vcc
	s_cbranch_execz .LBB9_218
; %bb.215:                              ;   in Loop: Header=BB9_103 Depth=1
	flat_atomic_add v15, v[8:9], v49 offset:512 glc
                                        ; implicit-def: $vgpr14
	s_waitcnt vmcnt(0) lgkmcnt(0)
	v_cmp_lt_i32_e32 vcc, v15, v32
	s_and_saveexec_b64 s[16:17], vcc
; %bb.216:                              ;   in Loop: Header=BB9_103 Depth=1
	s_mov_b64 s[14:15], exec
	v_xad_u32 v14, v15, -1, v7
; %bb.217:                              ;   in Loop: Header=BB9_103 Depth=1
	s_or_b64 exec, exec, s[16:17]
	s_and_b64 s[14:15], s[14:15], exec
.LBB9_218:                              ;   in Loop: Header=BB9_103 Depth=1
	s_or_b64 exec, exec, s[12:13]
	s_and_b64 s[12:13], s[14:15], exec
	s_andn2_saveexec_b64 s[10:11], s[10:11]
	s_cbranch_execz .LBB9_139
.LBB9_219:                              ;   in Loop: Header=BB9_103 Depth=1
	flat_atomic_add v14, v[8:9], v49 offset:384 glc
	s_or_b64 s[12:13], s[12:13], exec
	s_or_b64 exec, exec, s[10:11]
	s_and_saveexec_b64 s[10:11], s[12:13]
	s_cbranch_execnz .LBB9_140
	s_branch .LBB9_141
.LBB9_220:                              ;   in Loop: Header=BB9_103 Depth=1
	v_cmp_eq_u32_e32 vcc, v15, v33
	s_mov_b64 s[14:15], 0
                                        ; implicit-def: $vgpr14
	s_and_saveexec_b64 s[12:13], vcc
	s_cbranch_execz .LBB9_224
; %bb.221:                              ;   in Loop: Header=BB9_103 Depth=1
	flat_atomic_add v15, v[8:9], v49 offset:512 glc
                                        ; implicit-def: $vgpr14
	s_waitcnt vmcnt(0) lgkmcnt(0)
	v_cmp_lt_i32_e32 vcc, v15, v32
	s_and_saveexec_b64 s[16:17], vcc
; %bb.222:                              ;   in Loop: Header=BB9_103 Depth=1
	s_mov_b64 s[14:15], exec
	v_xad_u32 v14, v15, -1, v7
; %bb.223:                              ;   in Loop: Header=BB9_103 Depth=1
	s_or_b64 exec, exec, s[16:17]
	s_and_b64 s[14:15], s[14:15], exec
.LBB9_224:                              ;   in Loop: Header=BB9_103 Depth=1
	s_or_b64 exec, exec, s[12:13]
	s_and_b64 s[12:13], s[14:15], exec
	s_andn2_saveexec_b64 s[10:11], s[10:11]
	s_cbranch_execz .LBB9_153
.LBB9_225:                              ;   in Loop: Header=BB9_103 Depth=1
	flat_atomic_add v14, v[8:9], v49 offset:384 glc
	s_or_b64 s[12:13], s[12:13], exec
	s_or_b64 exec, exec, s[10:11]
	s_and_saveexec_b64 s[10:11], s[12:13]
	s_cbranch_execnz .LBB9_154
	s_branch .LBB9_155
.LBB9_226:                              ;   in Loop: Header=BB9_103 Depth=1
	v_cmp_eq_u32_e32 vcc, v15, v33
	s_mov_b64 s[14:15], 0
                                        ; implicit-def: $vgpr14
	s_and_saveexec_b64 s[12:13], vcc
	s_cbranch_execz .LBB9_230
; %bb.227:                              ;   in Loop: Header=BB9_103 Depth=1
	flat_atomic_add v15, v[8:9], v49 offset:512 glc
                                        ; implicit-def: $vgpr14
	s_waitcnt vmcnt(0) lgkmcnt(0)
	v_cmp_lt_i32_e32 vcc, v15, v32
	s_and_saveexec_b64 s[16:17], vcc
; %bb.228:                              ;   in Loop: Header=BB9_103 Depth=1
	s_mov_b64 s[14:15], exec
	v_xad_u32 v14, v15, -1, v7
; %bb.229:                              ;   in Loop: Header=BB9_103 Depth=1
	s_or_b64 exec, exec, s[16:17]
	s_and_b64 s[14:15], s[14:15], exec
.LBB9_230:                              ;   in Loop: Header=BB9_103 Depth=1
	s_or_b64 exec, exec, s[12:13]
	s_and_b64 s[12:13], s[14:15], exec
	s_andn2_saveexec_b64 s[10:11], s[10:11]
	s_cbranch_execz .LBB9_157
.LBB9_231:                              ;   in Loop: Header=BB9_103 Depth=1
	flat_atomic_add v14, v[8:9], v49 offset:384 glc
	s_or_b64 s[12:13], s[12:13], exec
	s_or_b64 exec, exec, s[10:11]
	s_and_saveexec_b64 s[10:11], s[12:13]
	s_cbranch_execnz .LBB9_158
	s_branch .LBB9_159
.LBB9_232:                              ;   in Loop: Header=BB9_103 Depth=1
	v_cmp_eq_u32_e32 vcc, v15, v33
	s_mov_b64 s[14:15], 0
                                        ; implicit-def: $vgpr14
	s_and_saveexec_b64 s[12:13], vcc
	s_cbranch_execz .LBB9_236
; %bb.233:                              ;   in Loop: Header=BB9_103 Depth=1
	flat_atomic_add v15, v[8:9], v49 offset:512 glc
                                        ; implicit-def: $vgpr14
	s_waitcnt vmcnt(0) lgkmcnt(0)
	v_cmp_lt_i32_e32 vcc, v15, v32
	s_and_saveexec_b64 s[16:17], vcc
; %bb.234:                              ;   in Loop: Header=BB9_103 Depth=1
	s_mov_b64 s[14:15], exec
	v_xad_u32 v14, v15, -1, v7
; %bb.235:                              ;   in Loop: Header=BB9_103 Depth=1
	s_or_b64 exec, exec, s[16:17]
	s_and_b64 s[14:15], s[14:15], exec
.LBB9_236:                              ;   in Loop: Header=BB9_103 Depth=1
	s_or_b64 exec, exec, s[12:13]
	s_and_b64 s[12:13], s[14:15], exec
	s_andn2_saveexec_b64 s[10:11], s[10:11]
	s_cbranch_execz .LBB9_161
.LBB9_237:                              ;   in Loop: Header=BB9_103 Depth=1
	flat_atomic_add v14, v[8:9], v49 offset:384 glc
	s_or_b64 s[12:13], s[12:13], exec
	s_or_b64 exec, exec, s[10:11]
	s_and_saveexec_b64 s[10:11], s[12:13]
	s_cbranch_execnz .LBB9_162
	s_branch .LBB9_163
.LBB9_238:                              ;   in Loop: Header=BB9_103 Depth=1
	v_cmp_eq_u32_e32 vcc, v3, v33
	s_mov_b64 s[14:15], 0
                                        ; implicit-def: $vgpr14
	s_and_saveexec_b64 s[12:13], vcc
	s_cbranch_execz .LBB9_242
; %bb.239:                              ;   in Loop: Header=BB9_103 Depth=1
	flat_atomic_add v3, v[8:9], v49 offset:512 glc
                                        ; implicit-def: $vgpr14
	s_waitcnt vmcnt(0) lgkmcnt(0)
	v_cmp_lt_i32_e32 vcc, v3, v32
	s_and_saveexec_b64 s[16:17], vcc
	s_xor_b64 s[16:17], exec, s[16:17]
; %bb.240:                              ;   in Loop: Header=BB9_103 Depth=1
	s_mov_b64 s[14:15], exec
	v_xad_u32 v14, v3, -1, v7
; %bb.241:                              ;   in Loop: Header=BB9_103 Depth=1
	s_or_b64 exec, exec, s[16:17]
	s_and_b64 s[14:15], s[14:15], exec
.LBB9_242:                              ;   in Loop: Header=BB9_103 Depth=1
	s_or_b64 exec, exec, s[12:13]
	s_and_b64 s[12:13], s[14:15], exec
	s_andn2_saveexec_b64 s[10:11], s[10:11]
	s_cbranch_execz .LBB9_165
.LBB9_243:                              ;   in Loop: Header=BB9_103 Depth=1
	s_waitcnt vmcnt(0) lgkmcnt(0)
	flat_atomic_add v14, v[8:9], v49 offset:384 glc
	s_or_b64 s[12:13], s[12:13], exec
	s_or_b64 exec, exec, s[10:11]
	v_lshl_add_u32 v3, v28, 2, v22
	s_and_saveexec_b64 s[10:11], s[12:13]
	s_cbranch_execnz .LBB9_166
	s_branch .LBB9_167
.LBB9_244:                              ;   in Loop: Header=BB9_103 Depth=1
	v_cmp_eq_u32_e32 vcc, v11, v33
	s_mov_b64 s[14:15], 0
                                        ; implicit-def: $vgpr10
	s_and_saveexec_b64 s[12:13], vcc
	s_cbranch_execz .LBB9_248
; %bb.245:                              ;   in Loop: Header=BB9_103 Depth=1
	flat_atomic_add v11, v[8:9], v49 offset:512 glc
                                        ; implicit-def: $vgpr10
	s_waitcnt vmcnt(0) lgkmcnt(0)
	v_cmp_lt_i32_e32 vcc, v11, v32
	s_and_saveexec_b64 s[16:17], vcc
; %bb.246:                              ;   in Loop: Header=BB9_103 Depth=1
	s_mov_b64 s[14:15], exec
	v_xad_u32 v10, v11, -1, v7
; %bb.247:                              ;   in Loop: Header=BB9_103 Depth=1
	s_or_b64 exec, exec, s[16:17]
	s_and_b64 s[14:15], s[14:15], exec
.LBB9_248:                              ;   in Loop: Header=BB9_103 Depth=1
	s_or_b64 exec, exec, s[12:13]
	s_and_b64 s[12:13], s[14:15], exec
	s_andn2_saveexec_b64 s[10:11], s[10:11]
	s_cbranch_execz .LBB9_169
.LBB9_249:                              ;   in Loop: Header=BB9_103 Depth=1
	flat_atomic_add v10, v[8:9], v49 offset:384 glc
	s_or_b64 s[12:13], s[12:13], exec
	s_or_b64 exec, exec, s[10:11]
	s_and_saveexec_b64 s[10:11], s[12:13]
	s_cbranch_execnz .LBB9_170
	s_branch .LBB9_171
.LBB9_250:                              ;   in Loop: Header=BB9_103 Depth=1
	v_cmp_eq_u32_e32 vcc, v11, v33
	s_mov_b64 s[14:15], 0
                                        ; implicit-def: $vgpr10
	s_and_saveexec_b64 s[12:13], vcc
	s_cbranch_execz .LBB9_254
; %bb.251:                              ;   in Loop: Header=BB9_103 Depth=1
	flat_atomic_add v11, v[8:9], v49 offset:512 glc
                                        ; implicit-def: $vgpr10
	s_waitcnt vmcnt(0) lgkmcnt(0)
	v_cmp_lt_i32_e32 vcc, v11, v32
	s_and_saveexec_b64 s[16:17], vcc
; %bb.252:                              ;   in Loop: Header=BB9_103 Depth=1
	s_mov_b64 s[14:15], exec
	v_xad_u32 v10, v11, -1, v7
; %bb.253:                              ;   in Loop: Header=BB9_103 Depth=1
	s_or_b64 exec, exec, s[16:17]
	s_and_b64 s[14:15], s[14:15], exec
.LBB9_254:                              ;   in Loop: Header=BB9_103 Depth=1
	s_or_b64 exec, exec, s[12:13]
	s_and_b64 s[12:13], s[14:15], exec
	s_andn2_saveexec_b64 s[10:11], s[10:11]
	s_cbranch_execz .LBB9_173
.LBB9_255:                              ;   in Loop: Header=BB9_103 Depth=1
	flat_atomic_add v10, v[8:9], v49 offset:384 glc
	s_or_b64 s[12:13], s[12:13], exec
	s_or_b64 exec, exec, s[10:11]
	s_and_saveexec_b64 s[10:11], s[12:13]
	s_cbranch_execnz .LBB9_174
	s_branch .LBB9_175
.LBB9_256:                              ;   in Loop: Header=BB9_103 Depth=1
	v_cmp_eq_u32_e32 vcc, v11, v33
	s_mov_b64 s[14:15], 0
                                        ; implicit-def: $vgpr10
	s_and_saveexec_b64 s[12:13], vcc
	s_cbranch_execz .LBB9_260
; %bb.257:                              ;   in Loop: Header=BB9_103 Depth=1
	flat_atomic_add v11, v[8:9], v49 offset:512 glc
                                        ; implicit-def: $vgpr10
	s_waitcnt vmcnt(0) lgkmcnt(0)
	v_cmp_lt_i32_e32 vcc, v11, v32
	s_and_saveexec_b64 s[16:17], vcc
; %bb.258:                              ;   in Loop: Header=BB9_103 Depth=1
	s_mov_b64 s[14:15], exec
	v_xad_u32 v10, v11, -1, v7
; %bb.259:                              ;   in Loop: Header=BB9_103 Depth=1
	s_or_b64 exec, exec, s[16:17]
	s_and_b64 s[14:15], s[14:15], exec
.LBB9_260:                              ;   in Loop: Header=BB9_103 Depth=1
	s_or_b64 exec, exec, s[12:13]
	s_and_b64 s[12:13], s[14:15], exec
	s_andn2_saveexec_b64 s[10:11], s[10:11]
	s_cbranch_execz .LBB9_177
.LBB9_261:                              ;   in Loop: Header=BB9_103 Depth=1
	flat_atomic_add v10, v[8:9], v49 offset:384 glc
	s_or_b64 s[12:13], s[12:13], exec
	s_or_b64 exec, exec, s[10:11]
	s_and_saveexec_b64 s[10:11], s[12:13]
	s_cbranch_execz .LBB9_102
.LBB9_262:                              ;   in Loop: Header=BB9_103 Depth=1
	s_waitcnt vmcnt(0) lgkmcnt(0)
	v_ashrrev_i32_e32 v11, 31, v10
	v_lshlrev_b64 v[10:11], 2, v[10:11]
	v_add_co_u32_e32 v10, vcc, v4, v10
	v_add_u32_e32 v3, 3, v3
	v_addc_co_u32_e32 v11, vcc, v5, v11, vcc
	flat_store_dword v[10:11], v3
	s_branch .LBB9_102
.LBB9_263:
	s_or_b64 exec, exec, s[6:7]
.LBB9_264:
	s_or_b64 exec, exec, s[8:9]
	v_cmp_lt_i32_e32 vcc, v26, v24
	s_and_saveexec_b64 s[6:7], vcc
	s_cbranch_execz .LBB9_307
; %bb.265:
	v_lshl_add_u32 v3, v26, 2, v22
	s_mov_b64 s[8:9], 0
	v_bfrev_b32_e32 v16, -2
	v_mov_b32_e32 v17, 1
	s_branch .LBB9_267
.LBB9_266:                              ;   in Loop: Header=BB9_267 Depth=1
	s_or_b64 exec, exec, s[10:11]
	v_add_u32_e32 v26, v26, v36
	v_cmp_ge_i32_e32 vcc, v26, v24
	s_or_b64 s[8:9], vcc, s[8:9]
	v_add_u32_e32 v3, v3, v37
	s_andn2_b64 exec, exec, s[8:9]
	s_cbranch_execz .LBB9_307
.LBB9_267:                              ; =>This Inner Loop Header: Depth=1
	v_ashrrev_i32_e32 v27, 31, v26
	s_waitcnt vmcnt(0) lgkmcnt(0)
	v_lshlrev_b64 v[10:11], 4, v[26:27]
	v_add_co_u32_e32 v10, vcc, v23, v10
	v_addc_co_u32_e32 v11, vcc, v35, v11, vcc
	flat_load_dwordx4 v[10:13], v[10:11]
	s_mov_b64 s[12:13], 0
	s_waitcnt vmcnt(0) lgkmcnt(0)
	v_cmp_gt_i32_e32 vcc, 0, v10
	v_cndmask_b32_e64 v14, v16, 0, vcc
	v_xor_b32_e32 v10, v14, v10
	v_and_b32_e32 v10, v10, v34
	v_cmp_ge_u32_e32 vcc, v10, v33
                                        ; implicit-def: $vgpr14
	s_and_saveexec_b64 s[10:11], vcc
	s_xor_b64 s[10:11], exec, s[10:11]
	s_cbranch_execnz .LBB9_282
; %bb.268:                              ;   in Loop: Header=BB9_267 Depth=1
	s_andn2_saveexec_b64 s[10:11], s[10:11]
	s_cbranch_execnz .LBB9_287
.LBB9_269:                              ;   in Loop: Header=BB9_267 Depth=1
	s_or_b64 exec, exec, s[10:11]
	s_and_saveexec_b64 s[10:11], s[12:13]
	s_cbranch_execz .LBB9_271
.LBB9_270:                              ;   in Loop: Header=BB9_267 Depth=1
	s_waitcnt vmcnt(0) lgkmcnt(0)
	v_ashrrev_i32_e32 v15, 31, v14
	v_lshlrev_b64 v[14:15], 2, v[14:15]
	v_add_co_u32_e32 v14, vcc, v4, v14
	v_addc_co_u32_e32 v15, vcc, v5, v15, vcc
	flat_store_dword v[14:15], v3
.LBB9_271:                              ;   in Loop: Header=BB9_267 Depth=1
	s_or_b64 exec, exec, s[10:11]
	v_cmp_gt_i32_e32 vcc, 0, v11
	v_cndmask_b32_e64 v10, v16, 0, vcc
	v_xor_b32_e32 v10, v10, v11
	v_and_b32_e32 v11, v10, v34
	v_cmp_ge_u32_e32 vcc, v11, v33
	s_mov_b64 s[12:13], 0
                                        ; implicit-def: $vgpr10
	s_and_saveexec_b64 s[10:11], vcc
	s_xor_b64 s[10:11], exec, s[10:11]
	s_cbranch_execnz .LBB9_288
; %bb.272:                              ;   in Loop: Header=BB9_267 Depth=1
	s_andn2_saveexec_b64 s[10:11], s[10:11]
	s_cbranch_execnz .LBB9_293
.LBB9_273:                              ;   in Loop: Header=BB9_267 Depth=1
	s_or_b64 exec, exec, s[10:11]
	s_and_saveexec_b64 s[10:11], s[12:13]
	s_cbranch_execz .LBB9_275
.LBB9_274:                              ;   in Loop: Header=BB9_267 Depth=1
	s_waitcnt vmcnt(0) lgkmcnt(0)
	v_ashrrev_i32_e32 v11, 31, v10
	v_lshlrev_b64 v[10:11], 2, v[10:11]
	v_add_co_u32_e32 v10, vcc, v4, v10
	v_add_u32_e32 v14, 1, v3
	v_addc_co_u32_e32 v11, vcc, v5, v11, vcc
	flat_store_dword v[10:11], v14
.LBB9_275:                              ;   in Loop: Header=BB9_267 Depth=1
	s_or_b64 exec, exec, s[10:11]
	v_cmp_gt_i32_e32 vcc, 0, v12
	s_waitcnt vmcnt(0) lgkmcnt(0)
	v_cndmask_b32_e64 v10, v16, 0, vcc
	v_xor_b32_e32 v10, v10, v12
	v_and_b32_e32 v11, v10, v34
	v_cmp_ge_u32_e32 vcc, v11, v33
	s_mov_b64 s[12:13], 0
                                        ; implicit-def: $vgpr10
	s_and_saveexec_b64 s[10:11], vcc
	s_xor_b64 s[10:11], exec, s[10:11]
	s_cbranch_execnz .LBB9_294
; %bb.276:                              ;   in Loop: Header=BB9_267 Depth=1
	s_andn2_saveexec_b64 s[10:11], s[10:11]
	s_cbranch_execnz .LBB9_299
.LBB9_277:                              ;   in Loop: Header=BB9_267 Depth=1
	s_or_b64 exec, exec, s[10:11]
	s_and_saveexec_b64 s[10:11], s[12:13]
	s_cbranch_execz .LBB9_279
.LBB9_278:                              ;   in Loop: Header=BB9_267 Depth=1
	s_waitcnt vmcnt(0) lgkmcnt(0)
	v_ashrrev_i32_e32 v11, 31, v10
	v_lshlrev_b64 v[10:11], 2, v[10:11]
	v_add_co_u32_e32 v10, vcc, v4, v10
	v_add_u32_e32 v12, 2, v3
	v_addc_co_u32_e32 v11, vcc, v5, v11, vcc
	flat_store_dword v[10:11], v12
.LBB9_279:                              ;   in Loop: Header=BB9_267 Depth=1
	s_or_b64 exec, exec, s[10:11]
	v_cmp_gt_i32_e32 vcc, 0, v13
	s_waitcnt vmcnt(0) lgkmcnt(0)
	v_cndmask_b32_e64 v10, v16, 0, vcc
	v_xor_b32_e32 v10, v10, v13
	v_and_b32_e32 v11, v10, v34
	v_cmp_ge_u32_e32 vcc, v11, v33
	s_mov_b64 s[12:13], 0
                                        ; implicit-def: $vgpr10
	s_and_saveexec_b64 s[10:11], vcc
	s_xor_b64 s[10:11], exec, s[10:11]
	s_cbranch_execnz .LBB9_300
; %bb.280:                              ;   in Loop: Header=BB9_267 Depth=1
	s_andn2_saveexec_b64 s[10:11], s[10:11]
	s_cbranch_execnz .LBB9_305
.LBB9_281:                              ;   in Loop: Header=BB9_267 Depth=1
	s_or_b64 exec, exec, s[10:11]
	s_and_saveexec_b64 s[10:11], s[12:13]
	s_cbranch_execz .LBB9_266
	s_branch .LBB9_306
.LBB9_282:                              ;   in Loop: Header=BB9_267 Depth=1
	v_cmp_eq_u32_e32 vcc, v10, v33
	s_mov_b64 s[14:15], 0
                                        ; implicit-def: $vgpr14
	s_and_saveexec_b64 s[12:13], vcc
	s_cbranch_execz .LBB9_286
; %bb.283:                              ;   in Loop: Header=BB9_267 Depth=1
	flat_atomic_add v10, v[8:9], v17 offset:512 glc
                                        ; implicit-def: $vgpr14
	s_waitcnt vmcnt(0) lgkmcnt(0)
	v_cmp_lt_i32_e32 vcc, v10, v32
	s_and_saveexec_b64 s[16:17], vcc
	s_xor_b64 s[16:17], exec, s[16:17]
; %bb.284:                              ;   in Loop: Header=BB9_267 Depth=1
	s_mov_b64 s[14:15], exec
	v_xad_u32 v14, v10, -1, v7
; %bb.285:                              ;   in Loop: Header=BB9_267 Depth=1
	s_or_b64 exec, exec, s[16:17]
	s_and_b64 s[14:15], s[14:15], exec
.LBB9_286:                              ;   in Loop: Header=BB9_267 Depth=1
	s_or_b64 exec, exec, s[12:13]
	s_and_b64 s[12:13], s[14:15], exec
	s_andn2_saveexec_b64 s[10:11], s[10:11]
	s_cbranch_execz .LBB9_269
.LBB9_287:                              ;   in Loop: Header=BB9_267 Depth=1
	flat_atomic_add v14, v[8:9], v17 offset:384 glc
	s_or_b64 s[12:13], s[12:13], exec
	s_or_b64 exec, exec, s[10:11]
	s_and_saveexec_b64 s[10:11], s[12:13]
	s_cbranch_execnz .LBB9_270
	s_branch .LBB9_271
.LBB9_288:                              ;   in Loop: Header=BB9_267 Depth=1
	v_cmp_eq_u32_e32 vcc, v11, v33
	s_mov_b64 s[14:15], 0
                                        ; implicit-def: $vgpr10
	s_and_saveexec_b64 s[12:13], vcc
	s_cbranch_execz .LBB9_292
; %bb.289:                              ;   in Loop: Header=BB9_267 Depth=1
	flat_atomic_add v11, v[8:9], v17 offset:512 glc
                                        ; implicit-def: $vgpr10
	s_waitcnt vmcnt(0) lgkmcnt(0)
	v_cmp_lt_i32_e32 vcc, v11, v32
	s_and_saveexec_b64 s[16:17], vcc
; %bb.290:                              ;   in Loop: Header=BB9_267 Depth=1
	s_mov_b64 s[14:15], exec
	v_xad_u32 v10, v11, -1, v7
; %bb.291:                              ;   in Loop: Header=BB9_267 Depth=1
	s_or_b64 exec, exec, s[16:17]
	s_and_b64 s[14:15], s[14:15], exec
.LBB9_292:                              ;   in Loop: Header=BB9_267 Depth=1
	s_or_b64 exec, exec, s[12:13]
	s_and_b64 s[12:13], s[14:15], exec
	s_andn2_saveexec_b64 s[10:11], s[10:11]
	s_cbranch_execz .LBB9_273
.LBB9_293:                              ;   in Loop: Header=BB9_267 Depth=1
	flat_atomic_add v10, v[8:9], v17 offset:384 glc
	s_or_b64 s[12:13], s[12:13], exec
	s_or_b64 exec, exec, s[10:11]
	s_and_saveexec_b64 s[10:11], s[12:13]
	s_cbranch_execnz .LBB9_274
	s_branch .LBB9_275
.LBB9_294:                              ;   in Loop: Header=BB9_267 Depth=1
	v_cmp_eq_u32_e32 vcc, v11, v33
	s_mov_b64 s[14:15], 0
                                        ; implicit-def: $vgpr10
	s_and_saveexec_b64 s[12:13], vcc
	s_cbranch_execz .LBB9_298
; %bb.295:                              ;   in Loop: Header=BB9_267 Depth=1
	flat_atomic_add v11, v[8:9], v17 offset:512 glc
                                        ; implicit-def: $vgpr10
	s_waitcnt vmcnt(0) lgkmcnt(0)
	v_cmp_lt_i32_e32 vcc, v11, v32
	s_and_saveexec_b64 s[16:17], vcc
; %bb.296:                              ;   in Loop: Header=BB9_267 Depth=1
	s_mov_b64 s[14:15], exec
	v_xad_u32 v10, v11, -1, v7
; %bb.297:                              ;   in Loop: Header=BB9_267 Depth=1
	s_or_b64 exec, exec, s[16:17]
	s_and_b64 s[14:15], s[14:15], exec
.LBB9_298:                              ;   in Loop: Header=BB9_267 Depth=1
	s_or_b64 exec, exec, s[12:13]
	s_and_b64 s[12:13], s[14:15], exec
	s_andn2_saveexec_b64 s[10:11], s[10:11]
	s_cbranch_execz .LBB9_277
.LBB9_299:                              ;   in Loop: Header=BB9_267 Depth=1
	flat_atomic_add v10, v[8:9], v17 offset:384 glc
	s_or_b64 s[12:13], s[12:13], exec
	s_or_b64 exec, exec, s[10:11]
	s_and_saveexec_b64 s[10:11], s[12:13]
	s_cbranch_execnz .LBB9_278
	s_branch .LBB9_279
.LBB9_300:                              ;   in Loop: Header=BB9_267 Depth=1
	v_cmp_eq_u32_e32 vcc, v11, v33
	s_mov_b64 s[14:15], 0
                                        ; implicit-def: $vgpr10
	s_and_saveexec_b64 s[12:13], vcc
	s_cbranch_execz .LBB9_304
; %bb.301:                              ;   in Loop: Header=BB9_267 Depth=1
	flat_atomic_add v11, v[8:9], v17 offset:512 glc
                                        ; implicit-def: $vgpr10
	s_waitcnt vmcnt(0) lgkmcnt(0)
	v_cmp_lt_i32_e32 vcc, v11, v32
	s_and_saveexec_b64 s[16:17], vcc
; %bb.302:                              ;   in Loop: Header=BB9_267 Depth=1
	s_mov_b64 s[14:15], exec
	v_xad_u32 v10, v11, -1, v7
; %bb.303:                              ;   in Loop: Header=BB9_267 Depth=1
	s_or_b64 exec, exec, s[16:17]
	s_and_b64 s[14:15], s[14:15], exec
.LBB9_304:                              ;   in Loop: Header=BB9_267 Depth=1
	s_or_b64 exec, exec, s[12:13]
	s_and_b64 s[12:13], s[14:15], exec
	s_andn2_saveexec_b64 s[10:11], s[10:11]
	s_cbranch_execz .LBB9_281
.LBB9_305:                              ;   in Loop: Header=BB9_267 Depth=1
	flat_atomic_add v10, v[8:9], v17 offset:384 glc
	s_or_b64 s[12:13], s[12:13], exec
	s_or_b64 exec, exec, s[10:11]
	s_and_saveexec_b64 s[10:11], s[12:13]
	s_cbranch_execz .LBB9_266
.LBB9_306:                              ;   in Loop: Header=BB9_267 Depth=1
	s_waitcnt vmcnt(0) lgkmcnt(0)
	v_ashrrev_i32_e32 v11, 31, v10
	v_lshlrev_b64 v[10:11], 2, v[10:11]
	v_add_co_u32_e32 v10, vcc, v4, v10
	v_add_u32_e32 v12, 3, v3
	v_addc_co_u32_e32 v11, vcc, v5, v11, vcc
	flat_store_dword v[10:11], v12
	s_branch .LBB9_266
.LBB9_307:
	s_or_b64 exec, exec, s[6:7]
	v_cmp_gt_u32_e32 vcc, v22, v2
	s_and_saveexec_b64 s[6:7], vcc
	s_cbranch_execz .LBB9_312
; %bb.308:
	v_lshlrev_b32_e32 v3, 2, v2
	s_waitcnt vmcnt(0) lgkmcnt(0)
	v_add_co_u32_e32 v10, vcc, v0, v3
	v_addc_co_u32_e32 v11, vcc, 0, v1, vcc
	flat_load_dword v3, v[10:11]
	v_bfrev_b32_e32 v10, -2
	s_mov_b64 s[10:11], 0
	s_waitcnt vmcnt(0) lgkmcnt(0)
	v_cmp_gt_i32_e32 vcc, 0, v3
	v_cndmask_b32_e64 v10, v10, 0, vcc
	v_xor_b32_e32 v3, v10, v3
	v_and_b32_e32 v3, v3, v34
	v_cmp_ge_u32_e32 vcc, v3, v33
                                        ; implicit-def: $vgpr10
	s_and_saveexec_b64 s[8:9], vcc
	s_xor_b64 s[8:9], exec, s[8:9]
	s_cbranch_execnz .LBB9_319
; %bb.309:
	s_andn2_saveexec_b64 s[8:9], s[8:9]
	s_cbranch_execnz .LBB9_324
.LBB9_310:
	s_or_b64 exec, exec, s[8:9]
	s_and_b64 exec, exec, s[10:11]
	s_cbranch_execz .LBB9_312
.LBB9_311:
	s_waitcnt vmcnt(0) lgkmcnt(0)
	v_ashrrev_i32_e32 v11, 31, v10
	v_lshlrev_b64 v[10:11], 2, v[10:11]
	v_add_co_u32_e32 v10, vcc, v4, v10
	v_addc_co_u32_e32 v11, vcc, v5, v11, vcc
	flat_store_dword v[10:11], v2
.LBB9_312:
	s_or_b64 exec, exec, s[6:7]
	v_lshlrev_b32_e32 v3, 2, v24
	v_add3_u32 v2, v22, v2, v3
	v_cmp_lt_i32_e32 vcc, v2, v6
	s_and_saveexec_b64 s[6:7], vcc
	s_cbranch_execz .LBB9_317
; %bb.313:
	v_ashrrev_i32_e32 v3, 31, v2
	s_waitcnt vmcnt(0) lgkmcnt(0)
	v_lshlrev_b64 v[10:11], 2, v[2:3]
	v_add_co_u32_e32 v0, vcc, v0, v10
	v_addc_co_u32_e32 v1, vcc, v1, v11, vcc
	flat_load_dword v0, v[0:1]
	v_bfrev_b32_e32 v1, -2
	s_mov_b64 s[10:11], 0
	s_waitcnt vmcnt(0) lgkmcnt(0)
	v_cmp_gt_i32_e32 vcc, 0, v0
	v_cndmask_b32_e64 v1, v1, 0, vcc
	v_xor_b32_e32 v0, v1, v0
	v_and_b32_e32 v1, v0, v34
	v_cmp_ge_u32_e32 vcc, v1, v33
                                        ; implicit-def: $vgpr0
	s_and_saveexec_b64 s[8:9], vcc
	s_xor_b64 s[8:9], exec, s[8:9]
	s_cbranch_execnz .LBB9_325
; %bb.314:
	s_andn2_saveexec_b64 s[8:9], s[8:9]
	s_cbranch_execnz .LBB9_330
.LBB9_315:
	s_or_b64 exec, exec, s[8:9]
	s_and_b64 exec, exec, s[10:11]
	s_cbranch_execz .LBB9_317
.LBB9_316:
	s_waitcnt vmcnt(0) lgkmcnt(0)
	v_ashrrev_i32_e32 v1, 31, v0
	v_lshlrev_b64 v[0:1], 2, v[0:1]
	v_add_co_u32_e32 v0, vcc, v4, v0
	v_addc_co_u32_e32 v1, vcc, v5, v1, vcc
	flat_store_dword v[0:1], v2
.LBB9_317:
	s_or_b64 exec, exec, s[6:7]
.LBB9_318:
	s_or_b64 exec, exec, s[4:5]
	v_accvgpr_read_b32 v58, a10             ;  Reload Reuse
	v_accvgpr_read_b32 v57, a9              ;  Reload Reuse
	v_accvgpr_read_b32 v56, a8              ;  Reload Reuse
	;; [unrolled: 1-line block ×10, first 2 shown]
	s_waitcnt vmcnt(0) lgkmcnt(0)
	s_setpc_b64 s[30:31]
.LBB9_319:
	v_cmp_eq_u32_e32 vcc, v3, v33
	s_mov_b64 s[12:13], 0
                                        ; implicit-def: $vgpr10
	s_and_saveexec_b64 s[10:11], vcc
	s_cbranch_execz .LBB9_323
; %bb.320:
	v_mov_b32_e32 v3, 1
	flat_atomic_add v3, v[8:9], v3 offset:512 glc
                                        ; implicit-def: $vgpr10
	s_waitcnt vmcnt(0) lgkmcnt(0)
	v_cmp_lt_i32_e32 vcc, v3, v32
	s_and_saveexec_b64 s[14:15], vcc
	s_xor_b64 s[14:15], exec, s[14:15]
; %bb.321:
	s_mov_b64 s[12:13], exec
	v_xad_u32 v10, v3, -1, v7
; %bb.322:
	s_or_b64 exec, exec, s[14:15]
	s_and_b64 s[12:13], s[12:13], exec
.LBB9_323:
	s_or_b64 exec, exec, s[10:11]
	s_and_b64 s[10:11], s[12:13], exec
	s_andn2_saveexec_b64 s[8:9], s[8:9]
	s_cbranch_execz .LBB9_310
.LBB9_324:
	v_mov_b32_e32 v3, 1
	flat_atomic_add v10, v[8:9], v3 offset:384 glc
	s_or_b64 s[10:11], s[10:11], exec
	s_or_b64 exec, exec, s[8:9]
	s_and_b64 exec, exec, s[10:11]
	s_cbranch_execnz .LBB9_311
	s_branch .LBB9_312
.LBB9_325:
	v_cmp_eq_u32_e32 vcc, v1, v33
	s_mov_b64 s[12:13], 0
                                        ; implicit-def: $vgpr0
	s_and_saveexec_b64 s[10:11], vcc
	s_cbranch_execz .LBB9_329
; %bb.326:
	v_mov_b32_e32 v0, 1
	flat_atomic_add v1, v[8:9], v0 offset:512 glc
                                        ; implicit-def: $vgpr0
	s_waitcnt vmcnt(0) lgkmcnt(0)
	v_cmp_lt_i32_e32 vcc, v1, v32
	s_and_saveexec_b64 s[14:15], vcc
	s_xor_b64 s[14:15], exec, s[14:15]
; %bb.327:
	s_mov_b64 s[12:13], exec
	v_xad_u32 v0, v1, -1, v7
; %bb.328:
	s_or_b64 exec, exec, s[14:15]
	s_and_b64 s[12:13], s[12:13], exec
.LBB9_329:
	s_or_b64 exec, exec, s[10:11]
	s_and_b64 s[10:11], s[12:13], exec
                                        ; implicit-def: $vgpr8_vgpr9
	s_andn2_saveexec_b64 s[8:9], s[8:9]
	s_cbranch_execz .LBB9_315
.LBB9_330:
	v_mov_b32_e32 v0, 1
	flat_atomic_add v0, v[8:9], v0 offset:384 glc
	s_or_b64 s[10:11], s[10:11], exec
	s_or_b64 exec, exec, s[8:9]
	s_and_b64 exec, exec, s[10:11]
	s_cbranch_execnz .LBB9_316
	s_branch .LBB9_317
.Lfunc_end9:
	.size	_ZN5aiter2ob11last_filterIfiLi12ELb0ELb0EEEvPKT_PKT0_PS2_PS5_S5_S5_PNS0_7CounterIS2_S5_EEbib, .Lfunc_end9-_ZN5aiter2ob11last_filterIfiLi12ELb0ELb0EEEvPKT_PKT0_PS2_PS5_S5_S5_PNS0_7CounterIS2_S5_EEbib
                                        ; -- End function
	.section	.AMDGPU.csdata,"",@progbits
; Function info:
; codeLenInByte = 7800
; NumSgprs: 36
; NumVgprs: 59
; NumAgprs: 11
; TotalNumVgprs: 71
; ScratchSize: 0
; MemoryBound: 0
	.section	.text._ZN5aiter2ob27radix_topk_one_block_kernelIfiLi12ELi1024ELb0ELb0ELNS0_5PhaseE0EEEvPKT_PKT0_lS8_S8_S6_PS3_PS6_bPci,"axG",@progbits,_ZN5aiter2ob27radix_topk_one_block_kernelIfiLi12ELi1024ELb0ELb0ELNS0_5PhaseE0EEEvPKT_PKT0_lS8_S8_S6_PS3_PS6_bPci,comdat
	.protected	_ZN5aiter2ob27radix_topk_one_block_kernelIfiLi12ELi1024ELb0ELb0ELNS0_5PhaseE0EEEvPKT_PKT0_lS8_S8_S6_PS3_PS6_bPci ; -- Begin function _ZN5aiter2ob27radix_topk_one_block_kernelIfiLi12ELi1024ELb0ELb0ELNS0_5PhaseE0EEEvPKT_PKT0_lS8_S8_S6_PS3_PS6_bPci
	.globl	_ZN5aiter2ob27radix_topk_one_block_kernelIfiLi12ELi1024ELb0ELb0ELNS0_5PhaseE0EEEvPKT_PKT0_lS8_S8_S6_PS3_PS6_bPci
	.p2align	8
	.type	_ZN5aiter2ob27radix_topk_one_block_kernelIfiLi12ELi1024ELb0ELb0ELNS0_5PhaseE0EEEvPKT_PKT0_lS8_S8_S6_PS3_PS6_bPci,@function
_ZN5aiter2ob27radix_topk_one_block_kernelIfiLi12ELi1024ELb0ELb0ELNS0_5PhaseE0EEEvPKT_PKT0_lS8_S8_S6_PS3_PS6_bPci: ; @_ZN5aiter2ob27radix_topk_one_block_kernelIfiLi12ELi1024ELb0ELb0ELNS0_5PhaseE0EEEvPKT_PKT0_lS8_S8_S6_PS3_PS6_bPci
; %bb.0:
	s_add_u32 flat_scratch_lo, s6, s9
	s_addc_u32 flat_scratch_hi, s7, 0
	s_load_dwordx8 s[20:27], s[4:5], 0x0
	s_load_dwordx2 s[6:7], s[4:5], 0x20
	s_add_u32 s0, s0, s9
	s_addc_u32 s1, s1, 0
	s_mov_b32 s12, s8
	s_waitcnt lgkmcnt(0)
	s_cmp_eq_u64 s[26:27], 0
	s_cselect_b64 s[8:9], -1, 0
	s_cmp_eq_u64 s[6:7], 0
	s_cselect_b64 s[10:11], -1, 0
	s_mov_b32 s13, 0
	s_or_b64 s[8:9], s[8:9], s[10:11]
	v_mov_b32_e32 v40, v0
	s_and_b64 vcc, exec, s[8:9]
	s_mov_b32 s33, s13
	s_mov_b32 s8, s24
	;; [unrolled: 1-line block ×3, first 2 shown]
	s_cbranch_vccnz .LBB10_2
; %bb.1:
	s_lshl_b64 s[8:9], s[12:13], 2
	s_add_u32 s6, s6, s8
	s_addc_u32 s7, s7, s9
	s_add_u32 s10, s26, s8
	s_addc_u32 s11, s27, s9
	s_load_dword s33, s[10:11], 0x0
	s_load_dword s8, s[6:7], 0x0
.LBB10_2:
	s_load_dword s40, s[4:5], 0x28
	s_waitcnt lgkmcnt(0)
	s_sub_i32 s13, s8, s33
	v_cmp_ne_u32_e64 s[8:9], 0, v40
	v_cmp_eq_u32_e64 s[6:7], 0, v40
	s_and_saveexec_b64 s[10:11], s[6:7]
	s_cbranch_execz .LBB10_4
; %bb.3:
	v_mov_b32_e32 v3, 0
	v_mov_b32_e32 v0, s40
	;; [unrolled: 1-line block ×4, first 2 shown]
	ds_write_b128 v3, v[0:3]
	ds_write2_b32 v3, v3, v3 offset0:96 offset1:128
.LBB10_4:
	s_or_b64 exec, exec, s[10:11]
	s_load_dwordx2 s[28:29], s[4:5], 0x38
	s_ashr_i32 s10, s40, 31
	s_mul_hi_u32 s11, s40, s12
	s_mul_i32 s10, s10, s12
	s_add_i32 s11, s11, s10
	s_mul_i32 s10, s40, s12
	s_lshl_b64 s[34:35], s[10:11], 2
	s_waitcnt lgkmcnt(0)
	s_add_u32 s41, s28, s34
	s_addc_u32 s42, s29, s35
	s_cmp_gt_i32 s13, s40
	s_mov_b64 s[10:11], -1
	s_barrier
	s_cbranch_scc1 .LBB10_14
; %bb.5:
	v_cmp_gt_i32_e32 vcc, s40, v40
	s_and_saveexec_b64 s[14:15], vcc
	s_cbranch_execz .LBB10_13
; %bb.6:
	v_xad_u32 v1, v40, -1, s40
	s_movk_i32 s10, 0x3ff
	v_cmp_lt_u32_e32 vcc, s10, v1
	s_mov_b64 s[10:11], -1
	v_mov_b32_e32 v0, v40
	s_and_saveexec_b64 s[16:17], vcc
	s_cbranch_execz .LBB10_10
; %bb.7:
	v_lshrrev_b32_e32 v0, 10, v1
	v_add_u32_e32 v4, 1, v0
	v_and_b32_e32 v5, 0x7ffffe, v4
	v_or_b32_e32 v41, 0x400, v40
	s_mov_b32 s26, s13
	s_mov_b32 s27, s33
	s_mov_b64 s[18:19], 0
	v_mov_b32_e32 v6, s42
	v_mov_b32_e32 v1, 0
	;; [unrolled: 1-line block ×3, first 2 shown]
	v_pk_mov_b32 v[2:3], v[40:41], v[40:41] op_sel:[0,1]
.LBB10_8:                               ; =>This Inner Loop Header: Depth=1
	v_add_u32_e32 v8, s33, v2
	v_cmp_gt_i32_e32 vcc, s13, v2
	v_add_u32_e32 v9, s27, v3
	v_mov_b32_e32 v0, v2
	v_cmp_gt_i32_e64 s[10:11], s26, v3
	v_add_u32_e32 v7, -2, v7
	v_cndmask_b32_e64 v12, -1, v9, s[10:11]
	v_cndmask_b32_e32 v13, -1, v8, vcc
	v_lshlrev_b64 v[8:9], 2, v[0:1]
	v_mov_b32_e32 v0, v3
	v_cmp_eq_u32_e32 vcc, 0, v7
	v_add_co_u32_e64 v8, s[10:11], s41, v8
	v_lshlrev_b64 v[10:11], 2, v[0:1]
	v_add_u32_e32 v2, 0x800, v2
	v_add_u32_e32 v3, 0x800, v3
	v_addc_co_u32_e64 v9, s[10:11], v6, v9, s[10:11]
	s_or_b64 s[18:19], vcc, s[18:19]
	v_add_co_u32_e32 v10, vcc, s41, v10
	v_addc_co_u32_e32 v11, vcc, v6, v11, vcc
	global_store_dword v[8:9], v13, off
	global_store_dword v[10:11], v12, off
	s_andn2_b64 exec, exec, s[18:19]
	s_cbranch_execnz .LBB10_8
; %bb.9:
	s_or_b64 exec, exec, s[18:19]
	v_cmp_ne_u32_e32 vcc, v4, v5
	v_lshl_or_b32 v0, v5, 10, v40
	s_orn2_b64 s[10:11], vcc, exec
.LBB10_10:
	s_or_b64 exec, exec, s[16:17]
	s_and_b64 exec, exec, s[10:11]
	s_cbranch_execz .LBB10_13
; %bb.11:
	v_mov_b32_e32 v1, 0
	s_add_u32 s10, s28, s34
	v_lshlrev_b64 v[2:3], 2, v[0:1]
	s_addc_u32 s11, s29, s35
	v_mov_b32_e32 v1, s11
	v_add_co_u32_e32 v2, vcc, s10, v2
	v_addc_co_u32_e32 v3, vcc, v1, v3, vcc
	s_mov_b64 s[16:17], 0
.LBB10_12:                              ; =>This Inner Loop Header: Depth=1
	v_add_u32_e32 v1, s33, v0
	v_cmp_gt_i32_e32 vcc, s13, v0
	v_add_u32_e32 v0, 0x400, v0
	v_cndmask_b32_e32 v1, -1, v1, vcc
	v_cmp_le_i32_e64 s[10:11], s40, v0
	global_store_dword v[2:3], v1, off
	v_add_co_u32_e32 v2, vcc, 0x1000, v2
	s_or_b64 s[16:17], s[10:11], s[16:17]
	v_addc_co_u32_e32 v3, vcc, 0, v3, vcc
	s_andn2_b64 exec, exec, s[16:17]
	s_cbranch_execnz .LBB10_12
.LBB10_13:
	s_or_b64 exec, exec, s[14:15]
	s_mov_b64 s[10:11], 0
.LBB10_14:
	s_andn2_b64 vcc, exec, s[10:11]
	s_cbranch_vccnz .LBB10_230
; %bb.15:
	s_load_dword s14, s[4:5], 0x64
	s_movk_i32 s10, 0x1000
	v_lshlrev_b32_e32 v30, 2, v40
	s_waitcnt lgkmcnt(0)
	s_and_b32 s43, s14, 0xffff
	v_cvt_f32_u32_e32 v0, s43
	v_add_u32_e32 v1, s43, v40
	v_mov_b32_e32 v2, s43
	s_sub_i32 s15, 0, s43
	v_rcp_iflag_f32_e32 v0, v0
	v_cmp_gt_u32_e32 vcc, s10, v1
	v_max_u32_e32 v3, 0x1000, v1
	v_addc_co_u32_e64 v1, s[10:11], v40, v2, vcc
	v_mul_f32_e32 v0, 0x4f7ffffe, v0
	v_cvt_u32_f32_e32 v0, v0
	v_sub_u32_e32 v1, v3, v1
	v_mul_lo_u32 v2, s15, v0
	v_mul_hi_u32 v2, v0, v2
	v_add_u32_e32 v0, v0, v2
	v_mul_hi_u32 v0, v1, v0
	v_mul_lo_u32 v2, v0, s43
	v_sub_u32_e32 v1, v1, v2
	v_add_u32_e32 v3, 1, v0
	v_cmp_le_u32_e64 s[10:11], s43, v1
	v_subrev_u32_e32 v2, s43, v1
	v_cndmask_b32_e64 v0, v0, v3, s[10:11]
	v_cndmask_b32_e64 v1, v1, v2, s[10:11]
	v_add_u32_e32 v2, 1, v0
	v_cmp_le_u32_e64 s[10:11], s43, v1
	v_cndmask_b32_e64 v0, v0, v2, s[10:11]
	v_addc_co_u32_e64 v34, s[10:11], 0, v0, vcc
	v_addc_co_u32_e32 v31, vcc, 1, v0, vcc
	v_cmp_lt_u32_e32 vcc, 1, v31
	v_cmp_eq_u16_e64 s[10:11], s14, 1
	s_and_b64 s[30:31], vcc, s[10:11]
	s_mov_b64 s[14:15], -1
	v_mov_b32_e32 v0, v40
	v_mov_b32_e32 v1, v30
	s_and_saveexec_b64 s[10:11], s[30:31]
	s_cbranch_execz .LBB10_26
; %bb.16:
	v_add_u32_e32 v1, -1, v34
	v_lshrrev_b32_e32 v0, 1, v1
	v_add_u32_e32 v0, 1, v0
	v_cmp_lt_u32_e32 vcc, 13, v1
	v_mov_b32_e32 v4, 0
	s_and_saveexec_b64 s[14:15], vcc
	s_cbranch_execz .LBB10_20
; %bb.17:
	v_and_b32_e32 v1, -8, v0
	v_add_u32_e32 v2, 0x4480, v30
	s_mov_b32 s18, 0
	s_mov_b64 s[16:17], 0
	v_mov_b32_e32 v3, 0
.LBB10_18:                              ; =>This Inner Loop Header: Depth=1
	v_add_u32_e32 v1, -8, v1
	s_add_i32 s18, s18, 16
	v_cmp_eq_u32_e32 vcc, 0, v1
	ds_write2_b32 v2, v3, v3 offset1:1
	ds_write2_b32 v2, v3, v3 offset0:2 offset1:3
	ds_write2_b32 v2, v3, v3 offset0:4 offset1:5
	;; [unrolled: 1-line block ×7, first 2 shown]
	v_add_u32_e32 v2, 64, v2
	s_or_b64 s[16:17], vcc, s[16:17]
	v_mov_b32_e32 v4, s18
	s_andn2_b64 exec, exec, s[16:17]
	s_cbranch_execnz .LBB10_18
; %bb.19:
	s_or_b64 exec, exec, s[16:17]
.LBB10_20:
	s_or_b64 exec, exec, s[14:15]
	v_and_b32_e32 v0, 7, v0
	v_cmp_ne_u32_e32 vcc, 0, v0
	s_and_saveexec_b64 s[14:15], vcc
	s_cbranch_execz .LBB10_23
; %bb.21:
	v_lshlrev_b32_e32 v1, 2, v4
	s_movk_i32 s16, 0x4480
	v_add3_u32 v1, v1, v30, s16
	s_mov_b64 s[16:17], 0
	v_mov_b32_e32 v2, 0
.LBB10_22:                              ; =>This Inner Loop Header: Depth=1
	v_add_u32_e32 v0, -1, v0
	v_cmp_eq_u32_e32 vcc, 0, v0
	ds_write2_b32 v1, v2, v2 offset1:1
	s_or_b64 s[16:17], vcc, s[16:17]
	v_add_u32_e32 v1, 8, v1
	s_andn2_b64 exec, exec, s[16:17]
	s_cbranch_execnz .LBB10_22
.LBB10_23:
	s_or_b64 exec, exec, s[14:15]
	v_and_b32_e32 v2, -2, v31
	v_cmp_ne_u32_e32 vcc, v31, v2
	s_mov_b64 s[14:15], 0
                                        ; implicit-def: $vgpr0
                                        ; implicit-def: $vgpr1
	s_and_saveexec_b64 s[16:17], vcc
	s_xor_b64 s[16:17], exec, s[16:17]
; %bb.24:
	v_add_u32_e32 v0, v40, v2
	s_mov_b64 s[14:15], exec
	v_lshlrev_b32_e32 v1, 2, v0
; %bb.25:
	s_or_b64 exec, exec, s[16:17]
	s_orn2_b64 s[14:15], s[14:15], exec
.LBB10_26:
	s_or_b64 exec, exec, s[10:11]
	s_lshl_b32 s44, s43, 2
	s_and_saveexec_b64 s[10:11], s[14:15]
	s_cbranch_execz .LBB10_29
; %bb.27:
	v_add_u32_e32 v1, 0x4480, v1
	s_mov_b64 s[14:15], 0
	v_mov_b32_e32 v2, 0
	s_movk_i32 s16, 0xfff
.LBB10_28:                              ; =>This Inner Loop Header: Depth=1
	v_add_u32_e32 v0, s43, v0
	v_cmp_lt_u32_e32 vcc, s16, v0
	ds_write_b32 v1, v2
	s_or_b64 s[14:15], vcc, s[14:15]
	v_add_u32_e32 v1, s44, v1
	s_andn2_b64 exec, exec, s[14:15]
	s_cbranch_execnz .LBB10_28
.LBB10_29:
	s_or_b64 exec, exec, s[10:11]
	s_and_saveexec_b64 s[10:11], s[6:7]
	s_cbranch_execz .LBB10_31
; %bb.30:
	v_mov_b32_e32 v0, 0
	ds_write_b32 v0, v0 offset:128
.LBB10_31:
	s_or_b64 exec, exec, s[10:11]
	s_mul_i32 s10, s12, s25
	s_mul_hi_u32 s11, s12, s24
	s_add_i32 s11, s11, s10
	s_mul_i32 s10, s12, s24
	s_ashr_i32 s14, s33, 31
	s_add_u32 s10, s10, s33
	s_addc_u32 s11, s11, s14
	s_lshl_b64 s[24:25], s[10:11], 2
	s_add_u32 s46, s20, s24
	s_addc_u32 s45, s21, s25
	s_and_b32 s10, s46, 15
	s_sub_i32 s14, 16, s10
	s_mov_b32 s11, 0
	s_lshr_b32 s14, s14, 2
	s_cmp_lg_u64 s[10:11], 0
	s_cselect_b32 s10, s14, 0
	s_min_i32 s14, s10, s13
	s_ashr_i32 s15, s14, 31
	s_lshl_b64 s[10:11], s[14:15], 2
	s_add_u32 s47, s46, s10
	s_addc_u32 s48, s45, s11
	s_sub_i32 s10, s13, s14
	s_ashr_i32 s11, s10, 31
	s_lshr_b32 s11, s11, 30
	s_add_i32 s10, s10, s11
	s_ashr_i32 s26, s10, 2
	s_ashr_i32 s27, s26, 31
	s_lshl_b32 s15, s43, 4
	s_add_u32 s50, s47, s15
	v_mov_b32_e32 v41, 0
	s_addc_u32 s52, s48, 0
	v_mad_u64_u32 v[20:21], s[10:11], s43, 3, v[40:41]
	s_add_u32 s51, s50, s15
	s_mov_b64 s[16:17], 0
	s_mul_i32 s49, s43, 3
	v_cmp_gt_u64_e64 s[18:19], s[26:27], v[20:21]
	s_addc_u32 s53, s52, 0
	v_mov_b32_e32 v8, v40
	s_waitcnt lgkmcnt(0)
	s_barrier
	s_and_saveexec_b64 s[20:21], s[18:19]
	s_cbranch_execz .LBB10_35
; %bb.32:
	v_mov_b32_e32 v12, s48
	v_mov_b32_e32 v13, s52
	;; [unrolled: 1-line block ×5, first 2 shown]
	v_pk_mov_b32 v[10:11], v[20:21], v[20:21] op_sel:[0,1]
	v_pk_mov_b32 v[8:9], v[40:41], v[40:41] op_sel:[0,1]
.LBB10_33:                              ; =>This Inner Loop Header: Depth=1
	v_lshlrev_b64 v[4:5], 4, v[8:9]
	v_add_co_u32_e32 v0, vcc, s47, v4
	v_addc_co_u32_e32 v1, vcc, v12, v5, vcc
	global_load_dwordx4 v[0:3], v[0:1], off
	v_lshlrev_b64 v[6:7], 4, v[10:11]
	v_add_co_u32_e32 v10, vcc, s50, v4
	v_addc_co_u32_e32 v11, vcc, v13, v5, vcc
	global_load_dwordx4 v[22:25], v[10:11], off
	v_add_co_u32_e32 v18, vcc, s51, v4
	v_addc_co_u32_e32 v19, vcc, v16, v5, vcc
	v_add_co_u32_e32 v26, vcc, s47, v6
	v_addc_co_u32_e32 v27, vcc, v12, v7, vcc
	v_add_u32_e32 v8, s44, v8
	v_ashrrev_i32_e32 v9, 31, v8
	s_waitcnt vmcnt(1)
	v_cmp_gt_i32_e32 vcc, 0, v0
	v_cndmask_b32_e64 v4, v14, 0, vcc
	v_cmp_gt_i32_e32 vcc, 0, v1
	v_cndmask_b32_e64 v5, v14, 0, vcc
	;; [unrolled: 2-line block ×4, first 2 shown]
	v_xor_b32_e32 v0, v4, v0
	v_xor_b32_e32 v1, v5, v1
	;; [unrolled: 1-line block ×4, first 2 shown]
	v_lshrrev_b32_e32 v0, 18, v0
	v_lshrrev_b32_e32 v1, 18, v1
	v_lshrrev_b32_e32 v2, 18, v2
	v_lshrrev_b32_e32 v3, 18, v3
	v_and_b32_e32 v0, 0x3ffc, v0
	v_and_b32_e32 v1, 0x3ffc, v1
	;; [unrolled: 1-line block ×4, first 2 shown]
	ds_add_u32 v0, v15 offset:17536
	ds_add_u32 v1, v15 offset:17536
	;; [unrolled: 1-line block ×4, first 2 shown]
	global_load_dwordx4 v[4:7], v[18:19], off
	global_load_dwordx4 v[0:3], v[26:27], off
	s_waitcnt vmcnt(2)
	v_cmp_gt_i32_e64 s[10:11], 0, v22
	v_cndmask_b32_e64 v11, v14, 0, s[10:11]
	v_cmp_gt_i32_e64 s[10:11], 0, v23
	v_cndmask_b32_e64 v17, v14, 0, s[10:11]
	;; [unrolled: 2-line block ×4, first 2 shown]
	v_xor_b32_e32 v11, v11, v22
	v_xor_b32_e32 v17, v17, v23
	;; [unrolled: 1-line block ×4, first 2 shown]
	v_lshrrev_b32_e32 v11, 18, v11
	v_lshrrev_b32_e32 v17, 18, v17
	;; [unrolled: 1-line block ×4, first 2 shown]
	v_and_b32_e32 v11, 0x3ffc, v11
	v_and_b32_e32 v17, 0x3ffc, v17
	;; [unrolled: 1-line block ×4, first 2 shown]
	ds_add_u32 v11, v15 offset:17536
	ds_add_u32 v17, v15 offset:17536
	;; [unrolled: 1-line block ×4, first 2 shown]
	v_add_co_u32_e32 v10, vcc, s49, v8
	s_waitcnt vmcnt(1)
	v_cmp_gt_i32_e64 s[10:11], 0, v4
	v_cndmask_b32_e64 v11, v14, 0, s[10:11]
	v_cmp_gt_i32_e64 s[10:11], 0, v5
	v_cndmask_b32_e64 v17, v14, 0, s[10:11]
	;; [unrolled: 2-line block ×4, first 2 shown]
	s_waitcnt vmcnt(0)
	v_cmp_gt_i32_e64 s[10:11], 0, v0
	v_cndmask_b32_e64 v22, v14, 0, s[10:11]
	v_cmp_gt_i32_e64 s[10:11], 0, v1
	v_cndmask_b32_e64 v23, v14, 0, s[10:11]
	;; [unrolled: 2-line block ×4, first 2 shown]
	v_xor_b32_e32 v4, v11, v4
	v_xor_b32_e32 v5, v17, v5
	;; [unrolled: 1-line block ×8, first 2 shown]
	v_lshrrev_b32_e32 v4, 18, v4
	v_lshrrev_b32_e32 v5, 18, v5
	;; [unrolled: 1-line block ×8, first 2 shown]
	v_and_b32_e32 v4, 0x3ffc, v4
	v_and_b32_e32 v5, 0x3ffc, v5
	;; [unrolled: 1-line block ×8, first 2 shown]
	ds_add_u32 v4, v15 offset:17536
	ds_add_u32 v5, v15 offset:17536
	;; [unrolled: 1-line block ×8, first 2 shown]
	v_addc_co_u32_e32 v11, vcc, 0, v9, vcc
	v_cmp_le_u64_e32 vcc, s[26:27], v[10:11]
	s_or_b64 s[16:17], vcc, s[16:17]
	s_andn2_b64 exec, exec, s[16:17]
	s_cbranch_execnz .LBB10_33
; %bb.34:
	s_or_b64 exec, exec, s[16:17]
.LBB10_35:
	s_or_b64 exec, exec, s[20:21]
	v_cmp_gt_i32_e32 vcc, s26, v8
	s_and_saveexec_b64 s[10:11], vcc
	s_cbranch_execz .LBB10_38
; %bb.36:
	s_mov_b64 s[16:17], 0
	v_mov_b32_e32 v0, s48
	v_mov_b32_e32 v1, 0x7ff00000
	v_mov_b32_e32 v2, 1
.LBB10_37:                              ; =>This Inner Loop Header: Depth=1
	v_ashrrev_i32_e32 v9, 31, v8
	v_lshlrev_b64 v[4:5], 4, v[8:9]
	v_add_co_u32_e32 v4, vcc, s47, v4
	v_addc_co_u32_e32 v5, vcc, v0, v5, vcc
	global_load_dwordx4 v[4:7], v[4:5], off
	v_add_u32_e32 v8, s43, v8
	s_waitcnt vmcnt(0)
	v_cmp_gt_i32_e32 vcc, 0, v4
	v_cndmask_b32_e64 v3, v1, 0, vcc
	v_cmp_gt_i32_e32 vcc, 0, v5
	v_cndmask_b32_e64 v9, v1, 0, vcc
	;; [unrolled: 2-line block ×3, first 2 shown]
	v_cmp_gt_i32_e32 vcc, 0, v7
	v_xor_b32_e32 v3, v3, v4
	v_cndmask_b32_e64 v11, v1, 0, vcc
	v_xor_b32_e32 v4, v9, v5
	v_xor_b32_e32 v5, v10, v6
	v_lshrrev_b32_e32 v3, 18, v3
	v_xor_b32_e32 v6, v11, v7
	v_lshrrev_b32_e32 v4, 18, v4
	v_lshrrev_b32_e32 v5, 18, v5
	v_and_b32_e32 v3, 0x3ffc, v3
	v_lshrrev_b32_e32 v6, 18, v6
	v_and_b32_e32 v4, 0x3ffc, v4
	v_and_b32_e32 v5, 0x3ffc, v5
	ds_add_u32 v3, v2 offset:17536
	ds_add_u32 v4, v2 offset:17536
	;; [unrolled: 1-line block ×3, first 2 shown]
	v_and_b32_e32 v3, 0x3ffc, v6
	ds_add_u32 v3, v2 offset:17536
	v_cmp_le_i32_e32 vcc, s26, v8
	s_or_b64 s[16:17], vcc, s[16:17]
	s_andn2_b64 exec, exec, s[16:17]
	s_cbranch_execnz .LBB10_37
.LBB10_38:
	s_or_b64 exec, exec, s[10:11]
	v_lshlrev_b32_e32 v0, 2, v40
	v_mov_b32_e32 v1, s45
	v_add_co_u32_e32 v22, vcc, s46, v0
	v_cmp_gt_u32_e64 s[10:11], s14, v40
	v_addc_co_u32_e32 v23, vcc, 0, v1, vcc
	s_and_saveexec_b64 s[16:17], s[10:11]
	s_cbranch_execz .LBB10_40
; %bb.39:
	global_load_dword v0, v[22:23], off
	v_mov_b32_e32 v1, 0x7ff00000
	s_waitcnt vmcnt(0)
	v_cmp_gt_i32_e32 vcc, 0, v0
	v_cndmask_b32_e64 v1, v1, 0, vcc
	v_xor_b32_e32 v0, v1, v0
	v_lshrrev_b32_e32 v0, 18, v0
	v_and_b32_e32 v0, 0x3ffc, v0
	v_mov_b32_e32 v1, 1
	ds_add_u32 v0, v1 offset:17536
.LBB10_40:
	s_or_b64 exec, exec, s[16:17]
	s_lshl_b32 s15, s26, 2
	s_add_i32 s15, s15, s14
	v_add_u32_e32 v0, s15, v40
	v_ashrrev_i32_e32 v1, 31, v0
	v_cmp_gt_i32_e64 s[14:15], s13, v0
	v_lshlrev_b64 v[0:1], 2, v[0:1]
	v_mov_b32_e32 v2, s45
	v_add_co_u32_e32 v24, vcc, s46, v0
	v_addc_co_u32_e32 v25, vcc, v2, v1, vcc
	s_and_saveexec_b64 s[16:17], s[14:15]
	s_cbranch_execz .LBB10_42
; %bb.41:
	global_load_dword v0, v[24:25], off
	v_mov_b32_e32 v1, 0x7ff00000
	s_waitcnt vmcnt(0)
	v_cmp_gt_i32_e32 vcc, 0, v0
	v_cndmask_b32_e64 v1, v1, 0, vcc
	v_xor_b32_e32 v0, v1, v0
	v_lshrrev_b32_e32 v0, 18, v0
	v_and_b32_e32 v0, 0x3ffc, v0
	v_mov_b32_e32 v1, 1
	ds_add_u32 v0, v1 offset:17536
.LBB10_42:
	s_or_b64 exec, exec, s[16:17]
	s_mov_b64 s[16:17], src_shared_base
	v_add_u32_e32 v12, 0x4480, v30
	v_mov_b32_e32 v13, s17
	v_add_u32_e32 v14, 0x5480, v30
	v_mov_b32_e32 v15, s17
	;; [unrolled: 2-line block ×4, first 2 shown]
	s_waitcnt lgkmcnt(0)
	s_barrier
	flat_load_dword v0, v[12:13] glc
	s_waitcnt vmcnt(0)
	flat_load_dword v1, v[14:15] glc
	s_waitcnt vmcnt(0)
	;; [unrolled: 2-line block ×4, first 2 shown]
	v_lshrrev_b32_e32 v5, 3, v40
	v_or_b32_e32 v6, 0x400, v40
	v_or_b32_e32 v7, 0x800, v40
	;; [unrolled: 1-line block ×3, first 2 shown]
	v_lshrrev_b32_e32 v9, 1, v40
	v_and_b32_e32 v10, 0x7c, v5
	v_lshrrev_b32_e32 v11, 3, v6
	v_lshrrev_b32_e32 v7, 3, v7
	;; [unrolled: 1-line block ×3, first 2 shown]
	v_mov_b32_e32 v4, 0x280
	v_add_lshl_u32 v5, v5, v30, 2
	v_lshl_add_u32 v9, v40, 4, v9
	v_add_u32_e32 v6, v30, v10
	v_and_b32_e32 v10, 0xfc, v11
	v_and_b32_e32 v11, 0x17c, v7
	;; [unrolled: 1-line block ×3, first 2 shown]
	v_lshl_add_u32 v32, v9, 2, v4
	v_add_u32_e32 v7, v10, v30
	v_add_u32_e32 v8, v30, v11
	;; [unrolled: 1-line block ×3, first 2 shown]
	v_cmp_gt_u32_e64 s[16:17], 64, v40
	s_waitcnt lgkmcnt(0)
	ds_write_b32 v6, v0 offset:640
	ds_write_b32 v7, v1 offset:4736
	;; [unrolled: 1-line block ×4, first 2 shown]
	s_waitcnt lgkmcnt(0)
	s_barrier
	ds_read2_b32 v[2:3], v5 offset0:160 offset1:161
	ds_read2_b32 v[0:1], v5 offset0:162 offset1:163
	s_waitcnt lgkmcnt(0)
	s_barrier
	v_add_u32_e32 v10, v3, v2
	v_add3_u32 v10, v10, v0, v1
	ds_write_b32 v6, v10 offset:640
	s_waitcnt lgkmcnt(0)
	s_barrier
	s_and_saveexec_b64 s[20:21], s[16:17]
	s_cbranch_execz .LBB10_44
; %bb.43:
	ds_read2_b32 v[26:27], v32 offset1:1
	ds_read2_b32 v[28:29], v32 offset0:2 offset1:3
	ds_read2_b32 v[36:37], v32 offset0:4 offset1:5
	;; [unrolled: 1-line block ×7, first 2 shown]
	s_waitcnt lgkmcnt(7)
	v_add_u32_e32 v11, v27, v26
	s_waitcnt lgkmcnt(6)
	v_add3_u32 v11, v11, v28, v29
	s_waitcnt lgkmcnt(5)
	v_add3_u32 v11, v11, v36, v37
	;; [unrolled: 2-line block ×5, first 2 shown]
	v_mbcnt_lo_u32_b32 v33, -1, 0
	s_waitcnt lgkmcnt(1)
	v_add3_u32 v11, v11, v46, v47
	v_mbcnt_hi_u32_b32 v33, -1, v33
	s_waitcnt lgkmcnt(0)
	v_add3_u32 v11, v11, v48, v49
	v_and_b32_e32 v35, 15, v33
	v_cmp_ne_u32_e32 vcc, 0, v35
	v_mov_b32_dpp v50, v11 row_shr:1 row_mask:0xf bank_mask:0xf
	v_cndmask_b32_e32 v50, 0, v50, vcc
	v_add_u32_e32 v11, v50, v11
	v_cmp_lt_u32_e32 vcc, 1, v35
	s_nop 0
	v_mov_b32_dpp v50, v11 row_shr:2 row_mask:0xf bank_mask:0xf
	v_cndmask_b32_e32 v50, 0, v50, vcc
	v_add_u32_e32 v11, v11, v50
	v_cmp_lt_u32_e32 vcc, 3, v35
	s_nop 0
	;; [unrolled: 5-line block ×3, first 2 shown]
	v_mov_b32_dpp v50, v11 row_shr:8 row_mask:0xf bank_mask:0xf
	v_cndmask_b32_e32 v35, 0, v50, vcc
	v_add_u32_e32 v11, v11, v35
	v_bfe_i32 v50, v33, 4, 1
	v_cmp_lt_u32_e32 vcc, 31, v33
	v_mov_b32_dpp v35, v11 row_bcast:15 row_mask:0xf bank_mask:0xf
	v_and_b32_e32 v35, v50, v35
	v_add_u32_e32 v11, v11, v35
	v_and_b32_e32 v50, 64, v33
	s_nop 0
	v_mov_b32_dpp v35, v11 row_bcast:31 row_mask:0xf bank_mask:0xf
	v_cndmask_b32_e32 v35, 0, v35, vcc
	v_add_u32_e32 v11, v11, v35
	v_add_u32_e32 v35, -1, v33
	v_cmp_lt_i32_e32 vcc, v35, v50
	v_cndmask_b32_e32 v33, v35, v33, vcc
	v_lshlrev_b32_e32 v33, 2, v33
	ds_bpermute_b32 v11, v33, v11
	s_waitcnt lgkmcnt(0)
	v_add_u32_e32 v11, v11, v26
	v_cndmask_b32_e64 v10, v11, v10, s[6:7]
	v_add_u32_e32 v11, v10, v27
	ds_write2_b32 v32, v10, v11 offset1:1
	v_add_u32_e32 v10, v11, v28
	v_add_u32_e32 v11, v10, v29
	ds_write2_b32 v32, v10, v11 offset0:2 offset1:3
	v_add_u32_e32 v10, v11, v36
	v_add_u32_e32 v11, v10, v37
	ds_write2_b32 v32, v10, v11 offset0:4 offset1:5
	;; [unrolled: 3-line block ×7, first 2 shown]
.LBB10_44:
	s_or_b64 exec, exec, s[20:21]
	v_add_u32_e32 v39, 0x280, v5
	v_add_u32_e32 v5, -1, v40
	v_add_u32_e32 v35, 0x280, v6
	v_lshrrev_b32_e32 v6, 5, v5
	v_add_u32_e32 v5, v6, v5
	v_add_u32_e32 v36, 0x280, v7
	;; [unrolled: 1-line block ×4, first 2 shown]
	v_lshl_add_u32 v42, v5, 2, v4
	v_mov_b32_e32 v4, 0
	v_mov_b32_e32 v5, 0
	s_waitcnt lgkmcnt(0)
	s_barrier
	s_and_saveexec_b64 s[20:21], s[8:9]
	s_cbranch_execz .LBB10_46
; %bb.45:
	ds_read_b32 v5, v42
.LBB10_46:
	s_or_b64 exec, exec, s[20:21]
	s_waitcnt lgkmcnt(0)
	v_add_u32_e32 v2, v5, v2
	v_add_u32_e32 v3, v2, v3
	;; [unrolled: 1-line block ×4, first 2 shown]
	s_barrier
	ds_write2_b32 v39, v2, v3 offset1:1
	ds_write2_b32 v39, v0, v1 offset0:2 offset1:3
	s_waitcnt lgkmcnt(0)
	s_barrier
	ds_read_b32 v0, v35
	ds_read_b32 v1, v36 offset:4096
	ds_read_b32 v2, v37 offset:8192
	;; [unrolled: 1-line block ×3, first 2 shown]
	s_waitcnt lgkmcnt(3)
	flat_store_dword v[12:13], v0
	s_waitcnt vmcnt(0) lgkmcnt(0)
	flat_store_dword v[14:15], v1
	s_waitcnt vmcnt(0)
	flat_store_dword v[16:17], v2
	s_waitcnt vmcnt(0)
	flat_store_dword v[18:19], v3
	s_waitcnt vmcnt(0) lgkmcnt(0)
	s_barrier
	ds_read_b32 v0, v4 offset:12
	v_add_u32_e32 v33, 0x447c, v30
	v_lshlrev_b32_e32 v1, 20, v40
	s_lshl_b32 s38, s43, 20
	s_mov_b64 s[36:37], 0
	s_movk_i32 s39, 0xfff
	v_mov_b32_e32 v2, v33
	v_mov_b32_e32 v3, v40
	s_branch .LBB10_48
.LBB10_47:                              ;   in Loop: Header=BB10_48 Depth=1
	s_or_b64 exec, exec, s[20:21]
	v_add_u32_e32 v3, s43, v3
	v_cmp_lt_u32_e32 vcc, s39, v3
	v_add_u32_e32 v2, s44, v2
	s_or_b64 s[36:37], vcc, s[36:37]
	v_add_u32_e32 v1, s38, v1
	s_andn2_b64 exec, exec, s[36:37]
	s_cbranch_execz .LBB10_52
.LBB10_48:                              ; =>This Inner Loop Header: Depth=1
	v_cmp_ne_u32_e32 vcc, 0, v3
	v_mov_b32_e32 v5, 0
	s_and_saveexec_b64 s[20:21], vcc
	s_cbranch_execz .LBB10_50
; %bb.49:                               ;   in Loop: Header=BB10_48 Depth=1
	ds_read_b32 v5, v2
.LBB10_50:                              ;   in Loop: Header=BB10_48 Depth=1
	s_or_b64 exec, exec, s[20:21]
	ds_read_b32 v6, v2 offset:4
	s_waitcnt lgkmcnt(1)
	v_cmp_gt_i32_e32 vcc, s40, v5
	s_waitcnt lgkmcnt(0)
	v_cmp_le_i32_e64 s[20:21], s40, v6
	s_and_b64 s[54:55], vcc, s[20:21]
	s_and_saveexec_b64 s[20:21], s[54:55]
	s_cbranch_execz .LBB10_47
; %bb.51:                               ;   in Loop: Header=BB10_48 Depth=1
	v_sub_u32_e32 v7, v6, v5
	v_sub_u32_e32 v6, s40, v5
	v_or_b32_e32 v0, v0, v1
	ds_write_b64 v4, v[6:7]
	ds_write_b32 v4, v0 offset:12
	s_branch .LBB10_47
.LBB10_52:
	s_or_b64 exec, exec, s[36:37]
	s_and_saveexec_b64 s[20:21], s[6:7]
	s_cbranch_execz .LBB10_54
; %bb.53:
	v_mov_b32_e32 v0, 0
	ds_read_b32 v1, v0 offset:4
	s_waitcnt lgkmcnt(0)
	ds_write_b32 v0, v1 offset:8
.LBB10_54:
	s_or_b64 exec, exec, s[20:21]
	v_mov_b32_e32 v0, 0
	s_waitcnt lgkmcnt(0)
	s_barrier
	ds_read_b64 v[26:27], v0
	s_mov_b32 s20, 0
	s_waitcnt lgkmcnt(0)
	v_cmp_eq_u32_e32 vcc, v27, v26
	s_cbranch_vccnz .LBB10_219
; %bb.55:
	s_mov_b64 s[36:37], -1
	v_mov_b32_e32 v0, v40
	v_mov_b32_e32 v1, v30
	s_and_saveexec_b64 s[20:21], s[30:31]
	s_cbranch_execz .LBB10_66
; %bb.56:
	v_add_u32_e32 v1, -1, v34
	v_lshrrev_b32_e32 v0, 1, v1
	v_add_u32_e32 v0, 1, v0
	v_cmp_lt_u32_e32 vcc, 13, v1
	v_mov_b32_e32 v4, 0
	s_and_saveexec_b64 s[36:37], vcc
	s_cbranch_execz .LBB10_60
; %bb.57:
	v_and_b32_e32 v1, -8, v0
	v_add_u32_e32 v2, 0x4480, v30
	s_mov_b32 s54, 0
	s_mov_b64 s[38:39], 0
	v_mov_b32_e32 v3, 0
.LBB10_58:                              ; =>This Inner Loop Header: Depth=1
	v_add_u32_e32 v1, -8, v1
	s_add_i32 s54, s54, 16
	v_cmp_eq_u32_e32 vcc, 0, v1
	ds_write2_b32 v2, v3, v3 offset1:1
	ds_write2_b32 v2, v3, v3 offset0:2 offset1:3
	ds_write2_b32 v2, v3, v3 offset0:4 offset1:5
	;; [unrolled: 1-line block ×7, first 2 shown]
	v_add_u32_e32 v2, 64, v2
	s_or_b64 s[38:39], vcc, s[38:39]
	v_mov_b32_e32 v4, s54
	s_andn2_b64 exec, exec, s[38:39]
	s_cbranch_execnz .LBB10_58
; %bb.59:
	s_or_b64 exec, exec, s[38:39]
.LBB10_60:
	s_or_b64 exec, exec, s[36:37]
	v_and_b32_e32 v0, 7, v0
	v_cmp_ne_u32_e32 vcc, 0, v0
	s_and_saveexec_b64 s[36:37], vcc
	s_cbranch_execz .LBB10_63
; %bb.61:
	v_lshlrev_b32_e32 v1, 2, v4
	s_movk_i32 s38, 0x4480
	v_add3_u32 v1, v1, v30, s38
	s_mov_b64 s[38:39], 0
	v_mov_b32_e32 v2, 0
.LBB10_62:                              ; =>This Inner Loop Header: Depth=1
	v_add_u32_e32 v0, -1, v0
	v_cmp_eq_u32_e32 vcc, 0, v0
	ds_write2_b32 v1, v2, v2 offset1:1
	s_or_b64 s[38:39], vcc, s[38:39]
	v_add_u32_e32 v1, 8, v1
	s_andn2_b64 exec, exec, s[38:39]
	s_cbranch_execnz .LBB10_62
.LBB10_63:
	s_or_b64 exec, exec, s[36:37]
	v_and_b32_e32 v2, -2, v31
	v_cmp_ne_u32_e32 vcc, v31, v2
	s_mov_b64 s[36:37], 0
                                        ; implicit-def: $vgpr0
                                        ; implicit-def: $vgpr1
	s_and_saveexec_b64 s[38:39], vcc
; %bb.64:
	v_add_u32_e32 v0, v40, v2
	s_mov_b64 s[36:37], exec
	v_lshlrev_b32_e32 v1, 2, v0
; %bb.65:
	s_or_b64 exec, exec, s[38:39]
	s_orn2_b64 s[36:37], s[36:37], exec
.LBB10_66:
	s_or_b64 exec, exec, s[20:21]
	s_and_saveexec_b64 s[20:21], s[36:37]
	s_cbranch_execz .LBB10_69
; %bb.67:
	v_add_u32_e32 v1, 0x4480, v1
	s_mov_b64 s[36:37], 0
	v_mov_b32_e32 v2, 0
	s_movk_i32 s38, 0xfff
.LBB10_68:                              ; =>This Inner Loop Header: Depth=1
	v_add_u32_e32 v0, s43, v0
	v_cmp_lt_u32_e32 vcc, s38, v0
	ds_write_b32 v1, v2
	s_or_b64 s[36:37], vcc, s[36:37]
	v_add_u32_e32 v1, s44, v1
	s_andn2_b64 exec, exec, s[36:37]
	s_cbranch_execnz .LBB10_68
.LBB10_69:
	s_or_b64 exec, exec, s[20:21]
	s_and_saveexec_b64 s[20:21], s[6:7]
	s_cbranch_execz .LBB10_71
; %bb.70:
	v_mov_b32_e32 v0, 0
	ds_write_b32 v0, v0 offset:128
.LBB10_71:
	s_or_b64 exec, exec, s[20:21]
	v_mov_b32_e32 v0, 0
	s_waitcnt lgkmcnt(0)
	s_barrier
	ds_read_b32 v27, v0 offset:12
	v_mov_b32_e32 v28, v40
	s_and_saveexec_b64 s[20:21], s[18:19]
	s_cbranch_execz .LBB10_107
; %bb.72:
	s_mov_b64 s[36:37], 0
	v_mov_b32_e32 v43, s48
	v_mov_b32_e32 v44, s52
	v_bfrev_b32_e32 v45, -2
	v_mov_b32_e32 v46, 1
	v_mov_b32_e32 v47, s53
	v_pk_mov_b32 v[8:9], v[20:21], v[20:21] op_sel:[0,1]
	v_pk_mov_b32 v[28:29], v[40:41], v[40:41] op_sel:[0,1]
	s_branch .LBB10_74
.LBB10_73:                              ;   in Loop: Header=BB10_74 Depth=1
	s_or_b64 exec, exec, s[38:39]
	v_add_u32_e32 v28, s44, v28
	v_ashrrev_i32_e32 v29, 31, v28
	v_add_co_u32_e32 v8, vcc, s49, v28
	v_addc_co_u32_e32 v9, vcc, 0, v29, vcc
	v_cmp_le_u64_e32 vcc, s[26:27], v[8:9]
	s_or_b64 s[36:37], vcc, s[36:37]
	s_andn2_b64 exec, exec, s[36:37]
	s_cbranch_execz .LBB10_106
.LBB10_74:                              ; =>This Inner Loop Header: Depth=1
	v_lshlrev_b64 v[10:11], 4, v[28:29]
	v_add_co_u32_e32 v0, vcc, s47, v10
	v_addc_co_u32_e32 v1, vcc, v43, v11, vcc
	global_load_dwordx4 v[0:3], v[0:1], off
	v_add_co_u32_e32 v4, vcc, s50, v10
	v_addc_co_u32_e32 v5, vcc, v44, v11, vcc
	global_load_dwordx4 v[4:7], v[4:5], off
	s_waitcnt vmcnt(1)
	v_cmp_gt_i32_e32 vcc, 0, v0
	v_cndmask_b32_e64 v29, v45, 0, vcc
	v_xor_b32_e32 v0, v29, v0
	v_and_b32_e32 v29, 0xfff00000, v0
	s_waitcnt lgkmcnt(0)
	v_cmp_eq_u32_e32 vcc, v29, v27
	s_and_saveexec_b64 s[38:39], vcc
	s_cbranch_execz .LBB10_76
; %bb.75:                               ;   in Loop: Header=BB10_74 Depth=1
	v_lshrrev_b32_e32 v0, 6, v0
	v_and_b32_e32 v0, 0x3ffc, v0
	ds_add_u32 v0, v46 offset:17536
.LBB10_76:                              ;   in Loop: Header=BB10_74 Depth=1
	s_or_b64 exec, exec, s[38:39]
	v_cmp_gt_i32_e32 vcc, 0, v1
	v_cndmask_b32_e64 v0, v45, 0, vcc
	v_xor_b32_e32 v0, v0, v1
	v_and_b32_e32 v1, 0xfff00000, v0
	v_cmp_eq_u32_e32 vcc, v1, v27
	s_and_saveexec_b64 s[38:39], vcc
	s_cbranch_execz .LBB10_78
; %bb.77:                               ;   in Loop: Header=BB10_74 Depth=1
	v_lshrrev_b32_e32 v0, 6, v0
	v_and_b32_e32 v0, 0x3ffc, v0
	ds_add_u32 v0, v46 offset:17536
.LBB10_78:                              ;   in Loop: Header=BB10_74 Depth=1
	s_or_b64 exec, exec, s[38:39]
	v_cmp_gt_i32_e32 vcc, 0, v2
	v_cndmask_b32_e64 v0, v45, 0, vcc
	v_xor_b32_e32 v0, v0, v2
	v_and_b32_e32 v1, 0xfff00000, v0
	;; [unrolled: 13-line block ×3, first 2 shown]
	v_cmp_eq_u32_e32 vcc, v1, v27
	s_and_saveexec_b64 s[38:39], vcc
	s_cbranch_execz .LBB10_82
; %bb.81:                               ;   in Loop: Header=BB10_74 Depth=1
	v_lshrrev_b32_e32 v0, 6, v0
	v_and_b32_e32 v0, 0x3ffc, v0
	ds_add_u32 v0, v46 offset:17536
.LBB10_82:                              ;   in Loop: Header=BB10_74 Depth=1
	s_or_b64 exec, exec, s[38:39]
	v_add_co_u32_e32 v48, vcc, s51, v10
	v_addc_co_u32_e32 v49, vcc, v47, v11, vcc
	v_lshlrev_b64 v[0:1], 4, v[8:9]
	v_add_co_u32_e32 v50, vcc, s47, v0
	v_addc_co_u32_e32 v51, vcc, v43, v1, vcc
	global_load_dwordx4 v[8:11], v[48:49], off
	global_load_dwordx4 v[0:3], v[50:51], off
	s_waitcnt vmcnt(2)
	v_cmp_gt_i32_e32 vcc, 0, v4
	v_cndmask_b32_e64 v29, v45, 0, vcc
	v_xor_b32_e32 v4, v29, v4
	v_and_b32_e32 v29, 0xfff00000, v4
	v_cmp_eq_u32_e32 vcc, v29, v27
	s_and_saveexec_b64 s[38:39], vcc
	s_cbranch_execz .LBB10_84
; %bb.83:                               ;   in Loop: Header=BB10_74 Depth=1
	v_lshrrev_b32_e32 v4, 6, v4
	v_and_b32_e32 v4, 0x3ffc, v4
	ds_add_u32 v4, v46 offset:17536
.LBB10_84:                              ;   in Loop: Header=BB10_74 Depth=1
	s_or_b64 exec, exec, s[38:39]
	v_cmp_gt_i32_e32 vcc, 0, v5
	v_cndmask_b32_e64 v4, v45, 0, vcc
	v_xor_b32_e32 v4, v4, v5
	v_and_b32_e32 v5, 0xfff00000, v4
	v_cmp_eq_u32_e32 vcc, v5, v27
	s_and_saveexec_b64 s[38:39], vcc
	s_cbranch_execz .LBB10_86
; %bb.85:                               ;   in Loop: Header=BB10_74 Depth=1
	v_lshrrev_b32_e32 v4, 6, v4
	v_and_b32_e32 v4, 0x3ffc, v4
	ds_add_u32 v4, v46 offset:17536
.LBB10_86:                              ;   in Loop: Header=BB10_74 Depth=1
	s_or_b64 exec, exec, s[38:39]
	;; [unrolled: 13-line block ×4, first 2 shown]
	s_waitcnt vmcnt(1)
	v_cmp_gt_i32_e32 vcc, 0, v8
	v_cndmask_b32_e64 v4, v45, 0, vcc
	v_xor_b32_e32 v4, v4, v8
	v_and_b32_e32 v5, 0xfff00000, v4
	v_cmp_eq_u32_e32 vcc, v5, v27
	s_and_saveexec_b64 s[38:39], vcc
	s_cbranch_execz .LBB10_92
; %bb.91:                               ;   in Loop: Header=BB10_74 Depth=1
	v_lshrrev_b32_e32 v4, 6, v4
	v_and_b32_e32 v4, 0x3ffc, v4
	ds_add_u32 v4, v46 offset:17536
.LBB10_92:                              ;   in Loop: Header=BB10_74 Depth=1
	s_or_b64 exec, exec, s[38:39]
	v_cmp_gt_i32_e32 vcc, 0, v9
	v_cndmask_b32_e64 v4, v45, 0, vcc
	v_xor_b32_e32 v4, v4, v9
	v_and_b32_e32 v5, 0xfff00000, v4
	v_cmp_eq_u32_e32 vcc, v5, v27
	s_and_saveexec_b64 s[38:39], vcc
	s_cbranch_execz .LBB10_94
; %bb.93:                               ;   in Loop: Header=BB10_74 Depth=1
	v_lshrrev_b32_e32 v4, 6, v4
	v_and_b32_e32 v4, 0x3ffc, v4
	ds_add_u32 v4, v46 offset:17536
.LBB10_94:                              ;   in Loop: Header=BB10_74 Depth=1
	s_or_b64 exec, exec, s[38:39]
	;; [unrolled: 13-line block ×4, first 2 shown]
	s_waitcnt vmcnt(0)
	v_cmp_gt_i32_e32 vcc, 0, v0
	v_cndmask_b32_e64 v4, v45, 0, vcc
	v_xor_b32_e32 v0, v4, v0
	v_and_b32_e32 v4, 0xfff00000, v0
	v_cmp_eq_u32_e32 vcc, v4, v27
	s_and_saveexec_b64 s[38:39], vcc
	s_cbranch_execz .LBB10_100
; %bb.99:                               ;   in Loop: Header=BB10_74 Depth=1
	v_lshrrev_b32_e32 v0, 6, v0
	v_and_b32_e32 v0, 0x3ffc, v0
	ds_add_u32 v0, v46 offset:17536
.LBB10_100:                             ;   in Loop: Header=BB10_74 Depth=1
	s_or_b64 exec, exec, s[38:39]
	v_cmp_gt_i32_e32 vcc, 0, v1
	v_cndmask_b32_e64 v0, v45, 0, vcc
	v_xor_b32_e32 v0, v0, v1
	v_and_b32_e32 v1, 0xfff00000, v0
	v_cmp_eq_u32_e32 vcc, v1, v27
	s_and_saveexec_b64 s[38:39], vcc
	s_cbranch_execz .LBB10_102
; %bb.101:                              ;   in Loop: Header=BB10_74 Depth=1
	v_lshrrev_b32_e32 v0, 6, v0
	v_and_b32_e32 v0, 0x3ffc, v0
	ds_add_u32 v0, v46 offset:17536
.LBB10_102:                             ;   in Loop: Header=BB10_74 Depth=1
	s_or_b64 exec, exec, s[38:39]
	v_cmp_gt_i32_e32 vcc, 0, v2
	v_cndmask_b32_e64 v0, v45, 0, vcc
	v_xor_b32_e32 v0, v0, v2
	v_and_b32_e32 v1, 0xfff00000, v0
	v_cmp_eq_u32_e32 vcc, v1, v27
	s_and_saveexec_b64 s[38:39], vcc
	s_cbranch_execz .LBB10_104
; %bb.103:                              ;   in Loop: Header=BB10_74 Depth=1
	v_lshrrev_b32_e32 v0, 6, v0
	v_and_b32_e32 v0, 0x3ffc, v0
	ds_add_u32 v0, v46 offset:17536
.LBB10_104:                             ;   in Loop: Header=BB10_74 Depth=1
	s_or_b64 exec, exec, s[38:39]
	v_cmp_gt_i32_e32 vcc, 0, v3
	v_cndmask_b32_e64 v0, v45, 0, vcc
	v_xor_b32_e32 v0, v0, v3
	v_and_b32_e32 v1, 0xfff00000, v0
	v_cmp_eq_u32_e32 vcc, v1, v27
	s_and_saveexec_b64 s[38:39], vcc
	s_cbranch_execz .LBB10_73
; %bb.105:                              ;   in Loop: Header=BB10_74 Depth=1
	v_lshrrev_b32_e32 v0, 6, v0
	v_and_b32_e32 v0, 0x3ffc, v0
	ds_add_u32 v0, v46 offset:17536
	s_branch .LBB10_73
.LBB10_106:
	s_or_b64 exec, exec, s[36:37]
.LBB10_107:
	s_or_b64 exec, exec, s[20:21]
	v_cmp_gt_i32_e32 vcc, s26, v28
	s_and_saveexec_b64 s[20:21], vcc
	s_cbranch_execz .LBB10_118
; %bb.108:
	s_mov_b64 s[36:37], 0
	v_mov_b32_e32 v4, s48
	v_bfrev_b32_e32 v5, -2
	v_mov_b32_e32 v6, 1
	s_branch .LBB10_110
.LBB10_109:                             ;   in Loop: Header=BB10_110 Depth=1
	s_or_b64 exec, exec, s[38:39]
	v_add_u32_e32 v28, s43, v28
	v_cmp_le_i32_e32 vcc, s26, v28
	s_or_b64 s[36:37], vcc, s[36:37]
	s_andn2_b64 exec, exec, s[36:37]
	s_cbranch_execz .LBB10_118
.LBB10_110:                             ; =>This Inner Loop Header: Depth=1
	v_ashrrev_i32_e32 v29, 31, v28
	v_lshlrev_b64 v[0:1], 4, v[28:29]
	v_add_co_u32_e32 v0, vcc, s47, v0
	v_addc_co_u32_e32 v1, vcc, v4, v1, vcc
	global_load_dwordx4 v[0:3], v[0:1], off
	s_waitcnt vmcnt(0)
	v_cmp_gt_i32_e32 vcc, 0, v0
	v_cndmask_b32_e64 v7, v5, 0, vcc
	v_xor_b32_e32 v0, v7, v0
	v_and_b32_e32 v7, 0xfff00000, v0
	s_waitcnt lgkmcnt(0)
	v_cmp_eq_u32_e32 vcc, v7, v27
	s_and_saveexec_b64 s[38:39], vcc
	s_cbranch_execz .LBB10_112
; %bb.111:                              ;   in Loop: Header=BB10_110 Depth=1
	v_lshrrev_b32_e32 v0, 6, v0
	v_and_b32_e32 v0, 0x3ffc, v0
	ds_add_u32 v0, v6 offset:17536
.LBB10_112:                             ;   in Loop: Header=BB10_110 Depth=1
	s_or_b64 exec, exec, s[38:39]
	v_cmp_gt_i32_e32 vcc, 0, v1
	v_cndmask_b32_e64 v0, v5, 0, vcc
	v_xor_b32_e32 v0, v0, v1
	v_and_b32_e32 v1, 0xfff00000, v0
	v_cmp_eq_u32_e32 vcc, v1, v27
	s_and_saveexec_b64 s[38:39], vcc
	s_cbranch_execz .LBB10_114
; %bb.113:                              ;   in Loop: Header=BB10_110 Depth=1
	v_lshrrev_b32_e32 v0, 6, v0
	v_and_b32_e32 v0, 0x3ffc, v0
	ds_add_u32 v0, v6 offset:17536
.LBB10_114:                             ;   in Loop: Header=BB10_110 Depth=1
	s_or_b64 exec, exec, s[38:39]
	v_cmp_gt_i32_e32 vcc, 0, v2
	v_cndmask_b32_e64 v0, v5, 0, vcc
	v_xor_b32_e32 v0, v0, v2
	v_and_b32_e32 v1, 0xfff00000, v0
	;; [unrolled: 13-line block ×3, first 2 shown]
	v_cmp_eq_u32_e32 vcc, v1, v27
	s_and_saveexec_b64 s[38:39], vcc
	s_cbranch_execz .LBB10_109
; %bb.117:                              ;   in Loop: Header=BB10_110 Depth=1
	v_lshrrev_b32_e32 v0, 6, v0
	v_and_b32_e32 v0, 0x3ffc, v0
	ds_add_u32 v0, v6 offset:17536
	s_branch .LBB10_109
.LBB10_118:
	s_or_b64 exec, exec, s[20:21]
	s_and_saveexec_b64 s[20:21], s[10:11]
	s_cbranch_execz .LBB10_121
; %bb.119:
	global_load_dword v0, v[22:23], off
	v_bfrev_b32_e32 v1, -2
	s_waitcnt vmcnt(0)
	v_cmp_gt_i32_e32 vcc, 0, v0
	v_cndmask_b32_e64 v1, v1, 0, vcc
	v_xor_b32_e32 v0, v1, v0
	v_and_b32_e32 v1, 0xfff00000, v0
	s_waitcnt lgkmcnt(0)
	v_cmp_eq_u32_e32 vcc, v1, v27
	s_and_b64 exec, exec, vcc
	s_cbranch_execz .LBB10_121
; %bb.120:
	v_lshrrev_b32_e32 v0, 6, v0
	v_and_b32_e32 v0, 0x3ffc, v0
	v_mov_b32_e32 v1, 1
	ds_add_u32 v0, v1 offset:17536
.LBB10_121:
	s_or_b64 exec, exec, s[20:21]
	s_and_saveexec_b64 s[20:21], s[14:15]
	s_cbranch_execz .LBB10_124
; %bb.122:
	global_load_dword v0, v[24:25], off
	v_bfrev_b32_e32 v1, -2
	s_waitcnt vmcnt(0)
	v_cmp_gt_i32_e32 vcc, 0, v0
	v_cndmask_b32_e64 v1, v1, 0, vcc
	v_xor_b32_e32 v0, v1, v0
	v_and_b32_e32 v1, 0xfff00000, v0
	s_waitcnt lgkmcnt(0)
	v_cmp_eq_u32_e32 vcc, v1, v27
	s_and_b64 exec, exec, vcc
	s_cbranch_execz .LBB10_124
; %bb.123:
	v_lshrrev_b32_e32 v0, 6, v0
	v_and_b32_e32 v0, 0x3ffc, v0
	v_mov_b32_e32 v1, 1
	ds_add_u32 v0, v1 offset:17536
.LBB10_124:
	s_or_b64 exec, exec, s[20:21]
	s_waitcnt lgkmcnt(0)
	s_barrier
	flat_load_dword v0, v[12:13] glc
	s_waitcnt vmcnt(0)
	flat_load_dword v1, v[14:15] glc
	s_waitcnt vmcnt(0)
	;; [unrolled: 2-line block ×3, first 2 shown]
	flat_load_dword v3, v[18:19] glc
	s_waitcnt vmcnt(0) lgkmcnt(0)
	ds_write_b32 v35, v0
	ds_write_b32 v36, v1 offset:4096
	ds_write_b32 v37, v2 offset:8192
	;; [unrolled: 1-line block ×3, first 2 shown]
	s_waitcnt lgkmcnt(0)
	s_barrier
	ds_read2_b32 v[2:3], v39 offset1:1
	ds_read2_b32 v[0:1], v39 offset0:2 offset1:3
	s_waitcnt lgkmcnt(0)
	s_barrier
	v_add_u32_e32 v4, v3, v2
	v_add3_u32 v4, v4, v0, v1
	ds_write_b32 v35, v4
	s_waitcnt lgkmcnt(0)
	s_barrier
	s_and_saveexec_b64 s[20:21], s[16:17]
	s_cbranch_execz .LBB10_126
; %bb.125:
	ds_read2_b32 v[6:7], v32 offset1:1
	ds_read2_b32 v[8:9], v32 offset0:2 offset1:3
	ds_read2_b32 v[10:11], v32 offset0:4 offset1:5
	;; [unrolled: 1-line block ×7, first 2 shown]
	s_waitcnt lgkmcnt(7)
	v_add_u32_e32 v5, v7, v6
	s_waitcnt lgkmcnt(6)
	v_add3_u32 v5, v5, v8, v9
	s_waitcnt lgkmcnt(5)
	v_add3_u32 v5, v5, v10, v11
	;; [unrolled: 2-line block ×5, first 2 shown]
	v_mbcnt_lo_u32_b32 v27, -1, 0
	s_waitcnt lgkmcnt(1)
	v_add3_u32 v5, v5, v48, v49
	v_mbcnt_hi_u32_b32 v27, -1, v27
	s_waitcnt lgkmcnt(0)
	v_add3_u32 v5, v5, v50, v51
	v_and_b32_e32 v43, 15, v27
	v_cmp_ne_u32_e32 vcc, 0, v43
	v_mov_b32_dpp v52, v5 row_shr:1 row_mask:0xf bank_mask:0xf
	v_cndmask_b32_e32 v52, 0, v52, vcc
	v_add_u32_e32 v5, v52, v5
	v_cmp_lt_u32_e32 vcc, 1, v43
	s_nop 0
	v_mov_b32_dpp v52, v5 row_shr:2 row_mask:0xf bank_mask:0xf
	v_cndmask_b32_e32 v52, 0, v52, vcc
	v_add_u32_e32 v5, v5, v52
	v_cmp_lt_u32_e32 vcc, 3, v43
	s_nop 0
	;; [unrolled: 5-line block ×3, first 2 shown]
	v_mov_b32_dpp v52, v5 row_shr:8 row_mask:0xf bank_mask:0xf
	v_cndmask_b32_e32 v43, 0, v52, vcc
	v_add_u32_e32 v5, v5, v43
	v_bfe_i32 v52, v27, 4, 1
	v_cmp_lt_u32_e32 vcc, 31, v27
	v_mov_b32_dpp v43, v5 row_bcast:15 row_mask:0xf bank_mask:0xf
	v_and_b32_e32 v43, v52, v43
	v_add_u32_e32 v5, v5, v43
	v_and_b32_e32 v52, 64, v27
	s_nop 0
	v_mov_b32_dpp v43, v5 row_bcast:31 row_mask:0xf bank_mask:0xf
	v_cndmask_b32_e32 v43, 0, v43, vcc
	v_add_u32_e32 v5, v5, v43
	v_add_u32_e32 v43, -1, v27
	v_cmp_lt_i32_e32 vcc, v43, v52
	v_cndmask_b32_e32 v27, v43, v27, vcc
	v_lshlrev_b32_e32 v27, 2, v27
	ds_bpermute_b32 v5, v27, v5
	s_waitcnt lgkmcnt(0)
	v_add_u32_e32 v5, v5, v6
	v_cndmask_b32_e64 v4, v5, v4, s[6:7]
	v_add_u32_e32 v5, v4, v7
	ds_write2_b32 v32, v4, v5 offset1:1
	v_add_u32_e32 v4, v5, v8
	v_add_u32_e32 v5, v4, v9
	ds_write2_b32 v32, v4, v5 offset0:2 offset1:3
	v_add_u32_e32 v4, v5, v10
	v_add_u32_e32 v5, v4, v11
	ds_write2_b32 v32, v4, v5 offset0:4 offset1:5
	;; [unrolled: 3-line block ×7, first 2 shown]
.LBB10_126:
	s_or_b64 exec, exec, s[20:21]
	v_mov_b32_e32 v4, 0
	v_mov_b32_e32 v5, 0
	s_waitcnt lgkmcnt(0)
	s_barrier
	s_and_saveexec_b64 s[20:21], s[8:9]
	s_cbranch_execz .LBB10_128
; %bb.127:
	ds_read_b32 v5, v42
.LBB10_128:
	s_or_b64 exec, exec, s[20:21]
	s_waitcnt lgkmcnt(0)
	v_add_u32_e32 v2, v5, v2
	v_add_u32_e32 v3, v2, v3
	;; [unrolled: 1-line block ×4, first 2 shown]
	s_barrier
	ds_write2_b32 v39, v2, v3 offset1:1
	ds_write2_b32 v39, v0, v1 offset0:2 offset1:3
	s_waitcnt lgkmcnt(0)
	s_barrier
	ds_read_b32 v0, v35
	ds_read_b32 v1, v36 offset:4096
	ds_read_b32 v2, v37 offset:8192
	;; [unrolled: 1-line block ×3, first 2 shown]
	s_waitcnt lgkmcnt(3)
	flat_store_dword v[12:13], v0
	s_waitcnt vmcnt(0) lgkmcnt(0)
	flat_store_dword v[14:15], v1
	s_waitcnt vmcnt(0)
	flat_store_dword v[16:17], v2
	s_waitcnt vmcnt(0)
	flat_store_dword v[18:19], v3
	s_waitcnt vmcnt(0) lgkmcnt(0)
	s_barrier
	ds_read_b32 v0, v4 offset:12
	v_lshlrev_b32_e32 v1, 8, v40
	s_lshl_b32 s38, s43, 8
	s_mov_b64 s[36:37], 0
	s_movk_i32 s39, 0xfff
	v_mov_b32_e32 v2, v33
	v_mov_b32_e32 v3, v40
	s_branch .LBB10_130
.LBB10_129:                             ;   in Loop: Header=BB10_130 Depth=1
	s_or_b64 exec, exec, s[20:21]
	v_add_u32_e32 v3, s43, v3
	v_cmp_lt_u32_e32 vcc, s39, v3
	v_add_u32_e32 v1, s38, v1
	s_or_b64 s[36:37], vcc, s[36:37]
	v_add_u32_e32 v2, s44, v2
	s_andn2_b64 exec, exec, s[36:37]
	s_cbranch_execz .LBB10_134
.LBB10_130:                             ; =>This Inner Loop Header: Depth=1
	v_cmp_ne_u32_e32 vcc, 0, v3
	v_mov_b32_e32 v5, 0
	s_and_saveexec_b64 s[20:21], vcc
	s_cbranch_execz .LBB10_132
; %bb.131:                              ;   in Loop: Header=BB10_130 Depth=1
	ds_read_b32 v5, v2
.LBB10_132:                             ;   in Loop: Header=BB10_130 Depth=1
	s_or_b64 exec, exec, s[20:21]
	ds_read_b32 v6, v2 offset:4
	s_waitcnt lgkmcnt(1)
	v_cmp_lt_i32_e32 vcc, v5, v26
	s_waitcnt lgkmcnt(0)
	v_cmp_ge_i32_e64 s[20:21], v6, v26
	s_and_b64 s[54:55], vcc, s[20:21]
	s_and_saveexec_b64 s[20:21], s[54:55]
	s_cbranch_execz .LBB10_129
; %bb.133:                              ;   in Loop: Header=BB10_130 Depth=1
	v_sub_u32_e32 v7, v6, v5
	v_sub_u32_e32 v6, v26, v5
	v_or_b32_e32 v0, v0, v1
	ds_write_b64 v4, v[6:7]
	ds_write_b32 v4, v0 offset:12
	s_branch .LBB10_129
.LBB10_134:
	s_or_b64 exec, exec, s[36:37]
	s_and_saveexec_b64 s[20:21], s[6:7]
	s_cbranch_execz .LBB10_136
; %bb.135:
	v_mov_b32_e32 v0, 0
	ds_read_b32 v1, v0 offset:4
	s_waitcnt lgkmcnt(0)
	ds_write_b32 v0, v1 offset:8
.LBB10_136:
	s_or_b64 exec, exec, s[20:21]
	v_mov_b32_e32 v0, 0
	s_waitcnt lgkmcnt(0)
	s_barrier
	ds_read_b64 v[26:27], v0
	s_mov_b32 s20, 1
	s_waitcnt lgkmcnt(0)
	v_cmp_eq_u32_e32 vcc, v27, v26
	s_cbranch_vccnz .LBB10_219
; %bb.137:
	s_mov_b64 s[36:37], -1
	v_mov_b32_e32 v0, v40
	s_and_saveexec_b64 s[20:21], s[30:31]
	s_cbranch_execz .LBB10_148
; %bb.138:
	v_add_u32_e32 v1, -1, v34
	v_lshrrev_b32_e32 v0, 1, v1
	v_add_u32_e32 v0, 1, v0
	v_cmp_lt_u32_e32 vcc, 13, v1
	v_mov_b32_e32 v4, 0
	s_and_saveexec_b64 s[30:31], vcc
	s_cbranch_execz .LBB10_142
; %bb.139:
	v_and_b32_e32 v1, -8, v0
	v_add_u32_e32 v2, 0x4480, v30
	s_mov_b32 s38, 0
	s_mov_b64 s[36:37], 0
	v_mov_b32_e32 v3, 0
.LBB10_140:                             ; =>This Inner Loop Header: Depth=1
	v_add_u32_e32 v1, -8, v1
	s_add_i32 s38, s38, 16
	v_cmp_eq_u32_e32 vcc, 0, v1
	ds_write2_b32 v2, v3, v3 offset1:1
	ds_write2_b32 v2, v3, v3 offset0:2 offset1:3
	ds_write2_b32 v2, v3, v3 offset0:4 offset1:5
	;; [unrolled: 1-line block ×7, first 2 shown]
	v_add_u32_e32 v2, 64, v2
	s_or_b64 s[36:37], vcc, s[36:37]
	v_mov_b32_e32 v4, s38
	s_andn2_b64 exec, exec, s[36:37]
	s_cbranch_execnz .LBB10_140
; %bb.141:
	s_or_b64 exec, exec, s[36:37]
.LBB10_142:
	s_or_b64 exec, exec, s[30:31]
	v_and_b32_e32 v0, 7, v0
	v_cmp_ne_u32_e32 vcc, 0, v0
	s_and_saveexec_b64 s[30:31], vcc
	s_cbranch_execz .LBB10_145
; %bb.143:
	v_lshlrev_b32_e32 v1, 2, v4
	s_movk_i32 s36, 0x4480
	v_add3_u32 v1, v1, v30, s36
	s_mov_b64 s[36:37], 0
	v_mov_b32_e32 v2, 0
.LBB10_144:                             ; =>This Inner Loop Header: Depth=1
	v_add_u32_e32 v0, -1, v0
	v_cmp_eq_u32_e32 vcc, 0, v0
	ds_write2_b32 v1, v2, v2 offset1:1
	s_or_b64 s[36:37], vcc, s[36:37]
	v_add_u32_e32 v1, 8, v1
	s_andn2_b64 exec, exec, s[36:37]
	s_cbranch_execnz .LBB10_144
.LBB10_145:
	s_or_b64 exec, exec, s[30:31]
	v_and_b32_e32 v1, -2, v31
	v_cmp_ne_u32_e32 vcc, v31, v1
	s_mov_b64 s[30:31], 0
                                        ; implicit-def: $vgpr0
                                        ; implicit-def: $vgpr30
	s_and_saveexec_b64 s[36:37], vcc
; %bb.146:
	v_add_u32_e32 v0, v40, v1
	s_mov_b64 s[30:31], exec
	v_lshlrev_b32_e32 v30, 2, v0
; %bb.147:
	s_or_b64 exec, exec, s[36:37]
	s_orn2_b64 s[36:37], s[30:31], exec
.LBB10_148:
	s_or_b64 exec, exec, s[20:21]
	s_and_saveexec_b64 s[20:21], s[36:37]
	s_cbranch_execz .LBB10_151
; %bb.149:
	v_add_u32_e32 v1, 0x4480, v30
	s_mov_b64 s[30:31], 0
	v_mov_b32_e32 v2, 0
	s_movk_i32 s36, 0xfff
.LBB10_150:                             ; =>This Inner Loop Header: Depth=1
	v_add_u32_e32 v0, s43, v0
	v_cmp_lt_u32_e32 vcc, s36, v0
	ds_write_b32 v1, v2
	s_or_b64 s[30:31], vcc, s[30:31]
	v_add_u32_e32 v1, s44, v1
	s_andn2_b64 exec, exec, s[30:31]
	s_cbranch_execnz .LBB10_150
.LBB10_151:
	s_or_b64 exec, exec, s[20:21]
	s_and_saveexec_b64 s[20:21], s[6:7]
	s_cbranch_execz .LBB10_153
; %bb.152:
	v_mov_b32_e32 v0, 0
	ds_write_b32 v0, v0 offset:128
.LBB10_153:
	s_or_b64 exec, exec, s[20:21]
	v_mov_b32_e32 v0, 0
	s_waitcnt lgkmcnt(0)
	s_barrier
	ds_read_b32 v27, v0 offset:12
	v_mov_b32_e32 v28, v40
	s_and_saveexec_b64 s[20:21], s[18:19]
	s_cbranch_execz .LBB10_189
; %bb.154:
	s_mov_b64 s[18:19], 0
	v_mov_b32_e32 v30, s48
	v_mov_b32_e32 v31, s52
	v_bfrev_b32_e32 v34, -2
	v_mov_b32_e32 v43, 1
	v_mov_b32_e32 v44, s53
	v_pk_mov_b32 v[28:29], v[40:41], v[40:41] op_sel:[0,1]
	s_branch .LBB10_156
.LBB10_155:                             ;   in Loop: Header=BB10_156 Depth=1
	s_or_b64 exec, exec, s[30:31]
	v_add_u32_e32 v28, s44, v28
	v_ashrrev_i32_e32 v29, 31, v28
	v_add_co_u32_e32 v20, vcc, s49, v28
	v_addc_co_u32_e32 v21, vcc, 0, v29, vcc
	v_cmp_le_u64_e32 vcc, s[26:27], v[20:21]
	s_or_b64 s[18:19], vcc, s[18:19]
	s_andn2_b64 exec, exec, s[18:19]
	s_cbranch_execz .LBB10_188
.LBB10_156:                             ; =>This Inner Loop Header: Depth=1
	v_lshlrev_b64 v[8:9], 4, v[28:29]
	v_add_co_u32_e32 v0, vcc, s47, v8
	v_addc_co_u32_e32 v1, vcc, v30, v9, vcc
	global_load_dwordx4 v[0:3], v[0:1], off
	v_add_co_u32_e32 v4, vcc, s50, v8
	v_addc_co_u32_e32 v5, vcc, v31, v9, vcc
	global_load_dwordx4 v[4:7], v[4:5], off
	s_waitcnt vmcnt(1)
	v_cmp_gt_i32_e32 vcc, 0, v0
	v_cndmask_b32_e64 v10, v34, 0, vcc
	v_xor_b32_e32 v0, v10, v0
	v_and_b32_e32 v10, 0xffffff00, v0
	s_waitcnt lgkmcnt(0)
	v_cmp_eq_u32_e32 vcc, v10, v27
	s_and_saveexec_b64 s[30:31], vcc
	s_cbranch_execz .LBB10_158
; %bb.157:                              ;   in Loop: Header=BB10_156 Depth=1
	v_and_b32_e32 v0, 0xfff, v0
	v_lshlrev_b32_e32 v0, 2, v0
	ds_add_u32 v0, v43 offset:17536
.LBB10_158:                             ;   in Loop: Header=BB10_156 Depth=1
	s_or_b64 exec, exec, s[30:31]
	v_cmp_gt_i32_e32 vcc, 0, v1
	v_cndmask_b32_e64 v0, v34, 0, vcc
	v_xor_b32_e32 v0, v0, v1
	v_and_b32_e32 v1, 0xffffff00, v0
	v_cmp_eq_u32_e32 vcc, v1, v27
	s_and_saveexec_b64 s[30:31], vcc
	s_cbranch_execz .LBB10_160
; %bb.159:                              ;   in Loop: Header=BB10_156 Depth=1
	v_and_b32_e32 v0, 0xfff, v0
	v_lshlrev_b32_e32 v0, 2, v0
	ds_add_u32 v0, v43 offset:17536
.LBB10_160:                             ;   in Loop: Header=BB10_156 Depth=1
	s_or_b64 exec, exec, s[30:31]
	v_cmp_gt_i32_e32 vcc, 0, v2
	v_cndmask_b32_e64 v0, v34, 0, vcc
	v_xor_b32_e32 v0, v0, v2
	v_and_b32_e32 v1, 0xffffff00, v0
	;; [unrolled: 13-line block ×3, first 2 shown]
	v_cmp_eq_u32_e32 vcc, v1, v27
	s_and_saveexec_b64 s[30:31], vcc
	s_cbranch_execz .LBB10_164
; %bb.163:                              ;   in Loop: Header=BB10_156 Depth=1
	v_and_b32_e32 v0, 0xfff, v0
	v_lshlrev_b32_e32 v0, 2, v0
	ds_add_u32 v0, v43 offset:17536
.LBB10_164:                             ;   in Loop: Header=BB10_156 Depth=1
	s_or_b64 exec, exec, s[30:31]
	v_add_co_u32_e32 v46, vcc, s51, v8
	v_addc_co_u32_e32 v47, vcc, v44, v9, vcc
	v_lshlrev_b64 v[0:1], 4, v[20:21]
	v_add_co_u32_e32 v20, vcc, s47, v0
	v_addc_co_u32_e32 v21, vcc, v30, v1, vcc
	global_load_dwordx4 v[8:11], v[46:47], off
	global_load_dwordx4 v[0:3], v[20:21], off
	s_waitcnt vmcnt(2)
	v_cmp_gt_i32_e32 vcc, 0, v4
	v_cndmask_b32_e64 v20, v34, 0, vcc
	v_xor_b32_e32 v4, v20, v4
	v_and_b32_e32 v20, 0xffffff00, v4
	v_cmp_eq_u32_e32 vcc, v20, v27
	s_and_saveexec_b64 s[30:31], vcc
	s_cbranch_execz .LBB10_166
; %bb.165:                              ;   in Loop: Header=BB10_156 Depth=1
	v_and_b32_e32 v4, 0xfff, v4
	v_lshlrev_b32_e32 v4, 2, v4
	ds_add_u32 v4, v43 offset:17536
.LBB10_166:                             ;   in Loop: Header=BB10_156 Depth=1
	s_or_b64 exec, exec, s[30:31]
	v_cmp_gt_i32_e32 vcc, 0, v5
	v_cndmask_b32_e64 v4, v34, 0, vcc
	v_xor_b32_e32 v4, v4, v5
	v_and_b32_e32 v5, 0xffffff00, v4
	v_cmp_eq_u32_e32 vcc, v5, v27
	s_and_saveexec_b64 s[30:31], vcc
	s_cbranch_execz .LBB10_168
; %bb.167:                              ;   in Loop: Header=BB10_156 Depth=1
	v_and_b32_e32 v4, 0xfff, v4
	v_lshlrev_b32_e32 v4, 2, v4
	ds_add_u32 v4, v43 offset:17536
.LBB10_168:                             ;   in Loop: Header=BB10_156 Depth=1
	s_or_b64 exec, exec, s[30:31]
	;; [unrolled: 13-line block ×4, first 2 shown]
	s_waitcnt vmcnt(1)
	v_cmp_gt_i32_e32 vcc, 0, v8
	v_cndmask_b32_e64 v4, v34, 0, vcc
	v_xor_b32_e32 v4, v4, v8
	v_and_b32_e32 v5, 0xffffff00, v4
	v_cmp_eq_u32_e32 vcc, v5, v27
	s_and_saveexec_b64 s[30:31], vcc
	s_cbranch_execz .LBB10_174
; %bb.173:                              ;   in Loop: Header=BB10_156 Depth=1
	v_and_b32_e32 v4, 0xfff, v4
	v_lshlrev_b32_e32 v4, 2, v4
	ds_add_u32 v4, v43 offset:17536
.LBB10_174:                             ;   in Loop: Header=BB10_156 Depth=1
	s_or_b64 exec, exec, s[30:31]
	v_cmp_gt_i32_e32 vcc, 0, v9
	v_cndmask_b32_e64 v4, v34, 0, vcc
	v_xor_b32_e32 v4, v4, v9
	v_and_b32_e32 v5, 0xffffff00, v4
	v_cmp_eq_u32_e32 vcc, v5, v27
	s_and_saveexec_b64 s[30:31], vcc
	s_cbranch_execz .LBB10_176
; %bb.175:                              ;   in Loop: Header=BB10_156 Depth=1
	v_and_b32_e32 v4, 0xfff, v4
	v_lshlrev_b32_e32 v4, 2, v4
	ds_add_u32 v4, v43 offset:17536
.LBB10_176:                             ;   in Loop: Header=BB10_156 Depth=1
	s_or_b64 exec, exec, s[30:31]
	;; [unrolled: 13-line block ×4, first 2 shown]
	s_waitcnt vmcnt(0)
	v_cmp_gt_i32_e32 vcc, 0, v0
	v_cndmask_b32_e64 v4, v34, 0, vcc
	v_xor_b32_e32 v0, v4, v0
	v_and_b32_e32 v4, 0xffffff00, v0
	v_cmp_eq_u32_e32 vcc, v4, v27
	s_and_saveexec_b64 s[30:31], vcc
	s_cbranch_execz .LBB10_182
; %bb.181:                              ;   in Loop: Header=BB10_156 Depth=1
	v_and_b32_e32 v0, 0xfff, v0
	v_lshlrev_b32_e32 v0, 2, v0
	ds_add_u32 v0, v43 offset:17536
.LBB10_182:                             ;   in Loop: Header=BB10_156 Depth=1
	s_or_b64 exec, exec, s[30:31]
	v_cmp_gt_i32_e32 vcc, 0, v1
	v_cndmask_b32_e64 v0, v34, 0, vcc
	v_xor_b32_e32 v0, v0, v1
	v_and_b32_e32 v1, 0xffffff00, v0
	v_cmp_eq_u32_e32 vcc, v1, v27
	s_and_saveexec_b64 s[30:31], vcc
	s_cbranch_execz .LBB10_184
; %bb.183:                              ;   in Loop: Header=BB10_156 Depth=1
	v_and_b32_e32 v0, 0xfff, v0
	v_lshlrev_b32_e32 v0, 2, v0
	ds_add_u32 v0, v43 offset:17536
.LBB10_184:                             ;   in Loop: Header=BB10_156 Depth=1
	s_or_b64 exec, exec, s[30:31]
	;; [unrolled: 13-line block ×3, first 2 shown]
	v_cmp_gt_i32_e32 vcc, 0, v3
	v_cndmask_b32_e64 v0, v34, 0, vcc
	v_xor_b32_e32 v0, v0, v3
	v_and_b32_e32 v1, 0xffffff00, v0
	v_cmp_eq_u32_e32 vcc, v1, v27
	s_and_saveexec_b64 s[30:31], vcc
	s_cbranch_execz .LBB10_155
; %bb.187:                              ;   in Loop: Header=BB10_156 Depth=1
	v_and_b32_e32 v0, 0xfff, v0
	v_lshlrev_b32_e32 v0, 2, v0
	ds_add_u32 v0, v43 offset:17536
	s_branch .LBB10_155
.LBB10_188:
	s_or_b64 exec, exec, s[18:19]
.LBB10_189:
	s_or_b64 exec, exec, s[20:21]
	v_cmp_gt_i32_e32 vcc, s26, v28
	s_and_saveexec_b64 s[18:19], vcc
	s_cbranch_execz .LBB10_200
; %bb.190:
	s_mov_b64 s[20:21], 0
	v_mov_b32_e32 v4, s48
	v_bfrev_b32_e32 v5, -2
	v_mov_b32_e32 v6, 1
	s_branch .LBB10_192
.LBB10_191:                             ;   in Loop: Header=BB10_192 Depth=1
	s_or_b64 exec, exec, s[30:31]
	v_add_u32_e32 v28, s43, v28
	v_cmp_le_i32_e32 vcc, s26, v28
	s_or_b64 s[20:21], vcc, s[20:21]
	s_andn2_b64 exec, exec, s[20:21]
	s_cbranch_execz .LBB10_200
.LBB10_192:                             ; =>This Inner Loop Header: Depth=1
	v_ashrrev_i32_e32 v29, 31, v28
	v_lshlrev_b64 v[0:1], 4, v[28:29]
	v_add_co_u32_e32 v0, vcc, s47, v0
	v_addc_co_u32_e32 v1, vcc, v4, v1, vcc
	global_load_dwordx4 v[0:3], v[0:1], off
	s_waitcnt vmcnt(0)
	v_cmp_gt_i32_e32 vcc, 0, v0
	v_cndmask_b32_e64 v7, v5, 0, vcc
	v_xor_b32_e32 v0, v7, v0
	v_and_b32_e32 v7, 0xffffff00, v0
	s_waitcnt lgkmcnt(0)
	v_cmp_eq_u32_e32 vcc, v7, v27
	s_and_saveexec_b64 s[30:31], vcc
	s_cbranch_execz .LBB10_194
; %bb.193:                              ;   in Loop: Header=BB10_192 Depth=1
	v_and_b32_e32 v0, 0xfff, v0
	v_lshlrev_b32_e32 v0, 2, v0
	ds_add_u32 v0, v6 offset:17536
.LBB10_194:                             ;   in Loop: Header=BB10_192 Depth=1
	s_or_b64 exec, exec, s[30:31]
	v_cmp_gt_i32_e32 vcc, 0, v1
	v_cndmask_b32_e64 v0, v5, 0, vcc
	v_xor_b32_e32 v0, v0, v1
	v_and_b32_e32 v1, 0xffffff00, v0
	v_cmp_eq_u32_e32 vcc, v1, v27
	s_and_saveexec_b64 s[30:31], vcc
	s_cbranch_execz .LBB10_196
; %bb.195:                              ;   in Loop: Header=BB10_192 Depth=1
	v_and_b32_e32 v0, 0xfff, v0
	v_lshlrev_b32_e32 v0, 2, v0
	ds_add_u32 v0, v6 offset:17536
.LBB10_196:                             ;   in Loop: Header=BB10_192 Depth=1
	s_or_b64 exec, exec, s[30:31]
	v_cmp_gt_i32_e32 vcc, 0, v2
	v_cndmask_b32_e64 v0, v5, 0, vcc
	v_xor_b32_e32 v0, v0, v2
	v_and_b32_e32 v1, 0xffffff00, v0
	;; [unrolled: 13-line block ×3, first 2 shown]
	v_cmp_eq_u32_e32 vcc, v1, v27
	s_and_saveexec_b64 s[30:31], vcc
	s_cbranch_execz .LBB10_191
; %bb.199:                              ;   in Loop: Header=BB10_192 Depth=1
	v_and_b32_e32 v0, 0xfff, v0
	v_lshlrev_b32_e32 v0, 2, v0
	ds_add_u32 v0, v6 offset:17536
	s_branch .LBB10_191
.LBB10_200:
	s_or_b64 exec, exec, s[18:19]
	s_and_saveexec_b64 s[18:19], s[10:11]
	s_cbranch_execz .LBB10_203
; %bb.201:
	global_load_dword v0, v[22:23], off
	v_bfrev_b32_e32 v1, -2
	s_waitcnt vmcnt(0)
	v_cmp_gt_i32_e32 vcc, 0, v0
	v_cndmask_b32_e64 v1, v1, 0, vcc
	v_xor_b32_e32 v0, v1, v0
	v_and_b32_e32 v1, 0xffffff00, v0
	s_waitcnt lgkmcnt(0)
	v_cmp_eq_u32_e32 vcc, v1, v27
	s_and_b64 exec, exec, vcc
	s_cbranch_execz .LBB10_203
; %bb.202:
	v_and_b32_e32 v0, 0xfff, v0
	v_lshlrev_b32_e32 v0, 2, v0
	v_mov_b32_e32 v1, 1
	ds_add_u32 v0, v1 offset:17536
.LBB10_203:
	s_or_b64 exec, exec, s[18:19]
	s_and_saveexec_b64 s[10:11], s[14:15]
	s_cbranch_execz .LBB10_206
; %bb.204:
	global_load_dword v0, v[24:25], off
	v_bfrev_b32_e32 v1, -2
	s_waitcnt vmcnt(0)
	v_cmp_gt_i32_e32 vcc, 0, v0
	v_cndmask_b32_e64 v1, v1, 0, vcc
	v_xor_b32_e32 v0, v1, v0
	v_and_b32_e32 v1, 0xffffff00, v0
	s_waitcnt lgkmcnt(0)
	v_cmp_eq_u32_e32 vcc, v1, v27
	s_and_b64 exec, exec, vcc
	s_cbranch_execz .LBB10_206
; %bb.205:
	v_and_b32_e32 v0, 0xfff, v0
	v_lshlrev_b32_e32 v0, 2, v0
	v_mov_b32_e32 v1, 1
	ds_add_u32 v0, v1 offset:17536
.LBB10_206:
	s_or_b64 exec, exec, s[10:11]
	s_waitcnt lgkmcnt(0)
	s_barrier
	flat_load_dword v0, v[12:13] glc
	s_waitcnt vmcnt(0)
	flat_load_dword v1, v[14:15] glc
	s_waitcnt vmcnt(0)
	;; [unrolled: 2-line block ×3, first 2 shown]
	flat_load_dword v3, v[18:19] glc
	s_waitcnt vmcnt(0) lgkmcnt(0)
	ds_write_b32 v35, v0
	ds_write_b32 v36, v1 offset:4096
	ds_write_b32 v37, v2 offset:8192
	;; [unrolled: 1-line block ×3, first 2 shown]
	s_waitcnt lgkmcnt(0)
	s_barrier
	ds_read2_b32 v[2:3], v39 offset1:1
	ds_read2_b32 v[0:1], v39 offset0:2 offset1:3
	s_waitcnt lgkmcnt(0)
	s_barrier
	v_add_u32_e32 v4, v3, v2
	v_add3_u32 v4, v4, v0, v1
	ds_write_b32 v35, v4
	s_waitcnt lgkmcnt(0)
	s_barrier
	s_and_saveexec_b64 s[10:11], s[16:17]
	s_cbranch_execz .LBB10_208
; %bb.207:
	ds_read2_b32 v[6:7], v32 offset1:1
	ds_read2_b32 v[8:9], v32 offset0:2 offset1:3
	ds_read2_b32 v[10:11], v32 offset0:4 offset1:5
	;; [unrolled: 1-line block ×7, first 2 shown]
	s_waitcnt lgkmcnt(7)
	v_add_u32_e32 v5, v7, v6
	s_waitcnt lgkmcnt(6)
	v_add3_u32 v5, v5, v8, v9
	s_waitcnt lgkmcnt(5)
	v_add3_u32 v5, v5, v10, v11
	;; [unrolled: 2-line block ×5, first 2 shown]
	v_mbcnt_lo_u32_b32 v27, -1, 0
	s_waitcnt lgkmcnt(1)
	v_add3_u32 v5, v5, v28, v29
	v_mbcnt_hi_u32_b32 v27, -1, v27
	s_waitcnt lgkmcnt(0)
	v_add3_u32 v5, v5, v30, v31
	v_and_b32_e32 v34, 15, v27
	v_cmp_ne_u32_e32 vcc, 0, v34
	v_mov_b32_dpp v43, v5 row_shr:1 row_mask:0xf bank_mask:0xf
	v_cndmask_b32_e32 v43, 0, v43, vcc
	v_add_u32_e32 v5, v43, v5
	v_cmp_lt_u32_e32 vcc, 1, v34
	s_nop 0
	v_mov_b32_dpp v43, v5 row_shr:2 row_mask:0xf bank_mask:0xf
	v_cndmask_b32_e32 v43, 0, v43, vcc
	v_add_u32_e32 v5, v5, v43
	v_cmp_lt_u32_e32 vcc, 3, v34
	s_nop 0
	;; [unrolled: 5-line block ×3, first 2 shown]
	v_mov_b32_dpp v43, v5 row_shr:8 row_mask:0xf bank_mask:0xf
	v_cndmask_b32_e32 v34, 0, v43, vcc
	v_add_u32_e32 v5, v5, v34
	v_bfe_i32 v43, v27, 4, 1
	v_cmp_lt_u32_e32 vcc, 31, v27
	v_mov_b32_dpp v34, v5 row_bcast:15 row_mask:0xf bank_mask:0xf
	v_and_b32_e32 v34, v43, v34
	v_add_u32_e32 v5, v5, v34
	v_and_b32_e32 v43, 64, v27
	s_nop 0
	v_mov_b32_dpp v34, v5 row_bcast:31 row_mask:0xf bank_mask:0xf
	v_cndmask_b32_e32 v34, 0, v34, vcc
	v_add_u32_e32 v5, v5, v34
	v_add_u32_e32 v34, -1, v27
	v_cmp_lt_i32_e32 vcc, v34, v43
	v_cndmask_b32_e32 v27, v34, v27, vcc
	v_lshlrev_b32_e32 v27, 2, v27
	ds_bpermute_b32 v5, v27, v5
	s_waitcnt lgkmcnt(0)
	v_add_u32_e32 v5, v5, v6
	v_cndmask_b32_e64 v4, v5, v4, s[6:7]
	v_add_u32_e32 v5, v4, v7
	ds_write2_b32 v32, v4, v5 offset1:1
	v_add_u32_e32 v4, v5, v8
	v_add_u32_e32 v5, v4, v9
	ds_write2_b32 v32, v4, v5 offset0:2 offset1:3
	v_add_u32_e32 v4, v5, v10
	v_add_u32_e32 v5, v4, v11
	ds_write2_b32 v32, v4, v5 offset0:4 offset1:5
	;; [unrolled: 3-line block ×7, first 2 shown]
.LBB10_208:
	s_or_b64 exec, exec, s[10:11]
	v_mov_b32_e32 v4, 0
	v_mov_b32_e32 v5, 0
	s_waitcnt lgkmcnt(0)
	s_barrier
	s_and_saveexec_b64 s[10:11], s[8:9]
	s_cbranch_execz .LBB10_210
; %bb.209:
	ds_read_b32 v5, v42
.LBB10_210:
	s_or_b64 exec, exec, s[10:11]
	s_waitcnt lgkmcnt(0)
	v_add_u32_e32 v2, v5, v2
	v_add_u32_e32 v3, v2, v3
	;; [unrolled: 1-line block ×4, first 2 shown]
	s_barrier
	ds_write2_b32 v39, v2, v3 offset1:1
	ds_write2_b32 v39, v0, v1 offset0:2 offset1:3
	s_waitcnt lgkmcnt(0)
	s_barrier
	ds_read_b32 v0, v35
	ds_read_b32 v1, v36 offset:4096
	ds_read_b32 v2, v37 offset:8192
	;; [unrolled: 1-line block ×3, first 2 shown]
	s_waitcnt lgkmcnt(3)
	flat_store_dword v[12:13], v0
	s_waitcnt vmcnt(0) lgkmcnt(0)
	flat_store_dword v[14:15], v1
	s_waitcnt vmcnt(0)
	flat_store_dword v[16:17], v2
	s_waitcnt vmcnt(0)
	flat_store_dword v[18:19], v3
	s_waitcnt vmcnt(0) lgkmcnt(0)
	s_barrier
	ds_read_b32 v0, v4 offset:12
	s_mov_b64 s[10:11], 0
	s_movk_i32 s14, 0xfff
	v_mov_b32_e32 v1, v40
	s_branch .LBB10_212
.LBB10_211:                             ;   in Loop: Header=BB10_212 Depth=1
	s_or_b64 exec, exec, s[8:9]
	v_add_u32_e32 v1, s43, v1
	v_cmp_lt_u32_e32 vcc, s14, v1
	s_or_b64 s[10:11], vcc, s[10:11]
	v_add_u32_e32 v33, s44, v33
	s_andn2_b64 exec, exec, s[10:11]
	s_cbranch_execz .LBB10_216
.LBB10_212:                             ; =>This Inner Loop Header: Depth=1
	v_cmp_ne_u32_e32 vcc, 0, v1
	v_mov_b32_e32 v2, 0
	s_and_saveexec_b64 s[8:9], vcc
	s_cbranch_execz .LBB10_214
; %bb.213:                              ;   in Loop: Header=BB10_212 Depth=1
	ds_read_b32 v2, v33
.LBB10_214:                             ;   in Loop: Header=BB10_212 Depth=1
	s_or_b64 exec, exec, s[8:9]
	ds_read_b32 v3, v33 offset:4
	s_waitcnt lgkmcnt(1)
	v_cmp_lt_i32_e32 vcc, v2, v26
	s_waitcnt lgkmcnt(0)
	v_cmp_ge_i32_e64 s[8:9], v3, v26
	s_and_b64 s[16:17], vcc, s[8:9]
	s_and_saveexec_b64 s[8:9], s[16:17]
	s_cbranch_execz .LBB10_211
; %bb.215:                              ;   in Loop: Header=BB10_212 Depth=1
	v_sub_u32_e32 v3, v3, v2
	v_sub_u32_e32 v2, v26, v2
	v_or_b32_e32 v0, v0, v1
	ds_write_b64 v4, v[2:3]
	ds_write_b32 v4, v0 offset:12
	s_branch .LBB10_211
.LBB10_216:
	s_or_b64 exec, exec, s[10:11]
	s_and_saveexec_b64 s[8:9], s[6:7]
	s_cbranch_execz .LBB10_218
; %bb.217:
	v_mov_b32_e32 v0, 0
	ds_read_b32 v1, v0 offset:4
	s_waitcnt lgkmcnt(0)
	ds_write_b32 v0, v1 offset:8
.LBB10_218:
	s_or_b64 exec, exec, s[8:9]
	s_mov_b32 s20, 2
	s_waitcnt lgkmcnt(0)
	s_barrier
.LBB10_219:
	s_add_u32 s6, s22, s24
	s_addc_u32 s7, s23, s25
	s_cmp_lg_u64 s[22:23], 0
	s_cselect_b32 s10, s6, 0
	s_cselect_b32 s11, s7, 0
	s_add_u32 s8, s4, 0x58
	s_addc_u32 s9, s5, 0
	s_mov_b64 s[4:5], src_shared_base
	v_mov_b32_e32 v31, v40
	v_mov_b32_e32 v0, s46
	;; [unrolled: 1-line block ×12, first 2 shown]
	s_getpc_b64 s[6:7]
	s_add_u32 s6, s6, _ZN5aiter2ob11last_filterIfiLi12ELb0ELb0EEEvPKT_PKT0_PS2_PS5_S5_S5_PNS0_7CounterIS2_S5_EEbib@rel32@lo+4
	s_addc_u32 s7, s7, _ZN5aiter2ob11last_filterIfiLi12ELb0ELb0EEEvPKT_PKT0_PS2_PS5_S5_S5_PNS0_7CounterIS2_S5_EEbib@rel32@hi+12
	s_swappc_b64 s[30:31], s[6:7]
	s_cmp_eq_u32 s33, 0
	s_cbranch_scc1 .LBB10_230
; %bb.220:
	v_cmp_gt_i32_e32 vcc, s40, v40
	s_barrier
	s_and_saveexec_b64 s[4:5], vcc
	s_cbranch_execz .LBB10_230
; %bb.221:
	v_xad_u32 v0, v40, -1, s40
	s_movk_i32 s4, 0x3ff
	v_cmp_lt_u32_e32 vcc, s4, v0
	s_mov_b64 s[6:7], -1
	s_and_saveexec_b64 s[4:5], vcc
	s_cbranch_execz .LBB10_227
; %bb.222:
	v_lshrrev_b32_e32 v0, 10, v0
	v_add_u32_e32 v5, 1, v0
	v_and_b32_e32 v4, 0x7ffffe, v5
	v_or_b32_e32 v41, 0x400, v40
	s_mov_b32 s8, s33
	s_mov_b64 s[6:7], 0
	v_mov_b32_e32 v6, s42
	v_mov_b32_e32 v1, 0
	;; [unrolled: 1-line block ×3, first 2 shown]
	v_pk_mov_b32 v[2:3], v[40:41], v[40:41] op_sel:[0,1]
.LBB10_223:                             ; =>This Inner Loop Header: Depth=1
	v_mov_b32_e32 v0, v2
	v_lshlrev_b64 v[8:9], 2, v[0:1]
	v_mov_b32_e32 v0, v3
	v_add_co_u32_e32 v8, vcc, s41, v8
	v_addc_co_u32_e32 v9, vcc, v6, v9, vcc
	v_lshlrev_b64 v[10:11], 2, v[0:1]
	v_add_co_u32_e32 v10, vcc, s41, v10
	v_addc_co_u32_e32 v11, vcc, v6, v11, vcc
	global_load_dword v0, v[8:9], off
	global_load_dword v12, v[10:11], off
	v_add_u32_e32 v7, -2, v7
	v_cmp_eq_u32_e32 vcc, 0, v7
	v_add_u32_e32 v2, 0x800, v2
	v_add_u32_e32 v3, 0x800, v3
	s_or_b64 s[6:7], vcc, s[6:7]
	s_waitcnt vmcnt(1)
	v_add_u32_e32 v0, s33, v0
	s_waitcnt vmcnt(0)
	v_add_u32_e32 v12, s8, v12
	global_store_dword v[8:9], v0, off
	global_store_dword v[10:11], v12, off
	s_andn2_b64 exec, exec, s[6:7]
	s_cbranch_execnz .LBB10_223
; %bb.224:
	s_or_b64 exec, exec, s[6:7]
	v_cmp_ne_u32_e32 vcc, v5, v4
	s_mov_b64 s[6:7], 0
	s_and_saveexec_b64 s[8:9], vcc
; %bb.225:
	s_mov_b64 s[6:7], exec
	v_lshl_or_b32 v40, v4, 10, v40
	v_mov_b32_e32 v41, 0
; %bb.226:
	s_or_b64 exec, exec, s[8:9]
	s_orn2_b64 s[6:7], s[6:7], exec
.LBB10_227:
	s_or_b64 exec, exec, s[4:5]
	s_and_b64 exec, exec, s[6:7]
	s_cbranch_execz .LBB10_230
; %bb.228:
	s_add_u32 s4, s28, s34
	v_lshlrev_b64 v[0:1], 2, v[40:41]
	s_addc_u32 s5, s29, s35
	v_mov_b32_e32 v2, s5
	v_add_co_u32_e32 v0, vcc, s4, v0
	v_addc_co_u32_e32 v1, vcc, v2, v1, vcc
	s_mov_b64 s[4:5], 0
.LBB10_229:                             ; =>This Inner Loop Header: Depth=1
	global_load_dword v2, v[0:1], off
	v_add_u32_e32 v40, 0x400, v40
	v_cmp_le_i32_e32 vcc, s40, v40
	s_or_b64 s[4:5], vcc, s[4:5]
	s_waitcnt vmcnt(0)
	v_add_u32_e32 v2, s33, v2
	global_store_dword v[0:1], v2, off
	v_add_co_u32_e32 v0, vcc, 0x1000, v0
	v_addc_co_u32_e32 v1, vcc, 0, v1, vcc
	s_andn2_b64 exec, exec, s[4:5]
	s_cbranch_execnz .LBB10_229
.LBB10_230:
	s_endpgm
	.section	.rodata,"a",@progbits
	.p2align	6, 0x0
	.amdhsa_kernel _ZN5aiter2ob27radix_topk_one_block_kernelIfiLi12ELi1024ELb0ELb0ELNS0_5PhaseE0EEEvPKT_PKT0_lS8_S8_S6_PS3_PS6_bPci
		.amdhsa_group_segment_fixed_size 33920
		.amdhsa_private_segment_fixed_size 0
		.amdhsa_kernarg_size 344
		.amdhsa_user_sgpr_count 8
		.amdhsa_user_sgpr_private_segment_buffer 1
		.amdhsa_user_sgpr_dispatch_ptr 0
		.amdhsa_user_sgpr_queue_ptr 0
		.amdhsa_user_sgpr_kernarg_segment_ptr 1
		.amdhsa_user_sgpr_dispatch_id 0
		.amdhsa_user_sgpr_flat_scratch_init 1
		.amdhsa_user_sgpr_kernarg_preload_length 0
		.amdhsa_user_sgpr_kernarg_preload_offset 0
		.amdhsa_user_sgpr_private_segment_size 0
		.amdhsa_uses_dynamic_stack 0
		.amdhsa_system_sgpr_private_segment_wavefront_offset 0
		.amdhsa_system_sgpr_workgroup_id_x 1
		.amdhsa_system_sgpr_workgroup_id_y 0
		.amdhsa_system_sgpr_workgroup_id_z 0
		.amdhsa_system_sgpr_workgroup_info 0
		.amdhsa_system_vgpr_workitem_id 0
		.amdhsa_next_free_vgpr 71
		.amdhsa_next_free_sgpr 56
		.amdhsa_accum_offset 60
		.amdhsa_reserve_vcc 1
		.amdhsa_reserve_flat_scratch 1
		.amdhsa_float_round_mode_32 0
		.amdhsa_float_round_mode_16_64 0
		.amdhsa_float_denorm_mode_32 3
		.amdhsa_float_denorm_mode_16_64 3
		.amdhsa_dx10_clamp 1
		.amdhsa_ieee_mode 1
		.amdhsa_fp16_overflow 0
		.amdhsa_tg_split 0
		.amdhsa_exception_fp_ieee_invalid_op 0
		.amdhsa_exception_fp_denorm_src 0
		.amdhsa_exception_fp_ieee_div_zero 0
		.amdhsa_exception_fp_ieee_overflow 0
		.amdhsa_exception_fp_ieee_underflow 0
		.amdhsa_exception_fp_ieee_inexact 0
		.amdhsa_exception_int_div_zero 0
	.end_amdhsa_kernel
	.section	.text._ZN5aiter2ob27radix_topk_one_block_kernelIfiLi12ELi1024ELb0ELb0ELNS0_5PhaseE0EEEvPKT_PKT0_lS8_S8_S6_PS3_PS6_bPci,"axG",@progbits,_ZN5aiter2ob27radix_topk_one_block_kernelIfiLi12ELi1024ELb0ELb0ELNS0_5PhaseE0EEEvPKT_PKT0_lS8_S8_S6_PS3_PS6_bPci,comdat
.Lfunc_end10:
	.size	_ZN5aiter2ob27radix_topk_one_block_kernelIfiLi12ELi1024ELb0ELb0ELNS0_5PhaseE0EEEvPKT_PKT0_lS8_S8_S6_PS3_PS6_bPci, .Lfunc_end10-_ZN5aiter2ob27radix_topk_one_block_kernelIfiLi12ELi1024ELb0ELb0ELNS0_5PhaseE0EEEvPKT_PKT0_lS8_S8_S6_PS3_PS6_bPci
                                        ; -- End function
	.section	.AMDGPU.csdata,"",@progbits
; Kernel info:
; codeLenInByte = 10676
; NumSgprs: 62
; NumVgprs: 59
; NumAgprs: 11
; TotalNumVgprs: 71
; ScratchSize: 0
; MemoryBound: 0
; FloatMode: 240
; IeeeMode: 1
; LDSByteSize: 33920 bytes/workgroup (compile time only)
; SGPRBlocks: 7
; VGPRBlocks: 8
; NumSGPRsForWavesPerEU: 62
; NumVGPRsForWavesPerEU: 71
; AccumOffset: 60
; Occupancy: 4
; WaveLimiterHint : 0
; COMPUTE_PGM_RSRC2:SCRATCH_EN: 0
; COMPUTE_PGM_RSRC2:USER_SGPR: 8
; COMPUTE_PGM_RSRC2:TRAP_HANDLER: 0
; COMPUTE_PGM_RSRC2:TGID_X_EN: 1
; COMPUTE_PGM_RSRC2:TGID_Y_EN: 0
; COMPUTE_PGM_RSRC2:TGID_Z_EN: 0
; COMPUTE_PGM_RSRC2:TIDIG_COMP_CNT: 0
; COMPUTE_PGM_RSRC3_GFX90A:ACCUM_OFFSET: 14
; COMPUTE_PGM_RSRC3_GFX90A:TG_SPLIT: 0
	.text
	.p2align	2                               ; -- Begin function _ZN5aiter2ob11last_filterIfiLi11ELb0ELb0EEEvPKT_PKT0_PS2_PS5_S5_S5_PNS0_7CounterIS2_S5_EEbib
	.type	_ZN5aiter2ob11last_filterIfiLi11ELb0ELb0EEEvPKT_PKT0_PS2_PS5_S5_S5_PNS0_7CounterIS2_S5_EEbib,@function
_ZN5aiter2ob11last_filterIfiLi11ELb0ELb0EEEvPKT_PKT0_PS2_PS5_S5_S5_PNS0_7CounterIS2_S5_EEbib: ; @_ZN5aiter2ob11last_filterIfiLi11ELb0ELb0EEEvPKT_PKT0_PS2_PS5_S5_S5_PNS0_7CounterIS2_S5_EEbib
; %bb.0:
	s_waitcnt vmcnt(0) expcnt(0) lgkmcnt(0)
	v_accvgpr_write_b32 a0, v40             ;  Reload Reuse
	v_accvgpr_write_b32 a1, v41             ;  Reload Reuse
	;; [unrolled: 1-line block ×10, first 2 shown]
	v_accvgpr_write_b32 a10, v58            ;  Reload Reuse
	flat_load_dword v33, v[8:9] offset:12
	flat_load_dword v32, v[8:9]
	v_mad_u64_u32 v[10:11], s[4:5], v10, -11, 21
	v_max_i32_e32 v22, 0, v10
	v_cmp_ne_u64_e32 vcc, 0, v[2:3]
	s_and_saveexec_b64 s[4:5], vcc
	s_xor_b64 s[4:5], exec, s[4:5]
	s_cbranch_execz .LBB11_99
; %bb.1:
	s_load_dword s6, s[8:9], 0x0
	v_mov_b32_e32 v11, 0
	v_and_b32_e32 v10, 0x3ff, v31
	s_waitcnt lgkmcnt(0)
	s_cmp_lt_u32 s12, s6
	s_cselect_b32 s6, 12, 18
	s_add_u32 s6, s8, s6
	s_addc_u32 s7, s9, 0
	global_load_ushort v12, v11, s[6:7]
	s_waitcnt vmcnt(0)
	v_mul_lo_u32 v23, v12, 7
	v_readfirstlane_b32 s13, v12
	v_add_u32_e32 v12, v10, v23
	v_cmp_lt_i32_e32 vcc, v12, v6
	s_and_saveexec_b64 s[6:7], vcc
	s_cbranch_execz .LBB11_85
; %bb.2:
	v_lshlrev_b32_e64 v24, v22, -1
	s_lshl_b32 s22, s13, 1
	s_mul_i32 s23, s13, 3
	s_lshl_b32 s24, s13, 2
	s_mul_i32 s25, s13, 5
	s_mul_i32 s26, s13, 6
	s_mov_b64 s[10:11], 0
	v_bfrev_b32_e32 v25, -2
	v_mov_b32_e32 v26, 1
	s_branch .LBB11_4
.LBB11_3:                               ;   in Loop: Header=BB11_4 Depth=1
	s_or_b64 exec, exec, s[14:15]
	s_add_i32 s14, s22, s13
	s_add_i32 s14, s14, s13
	;; [unrolled: 1-line block ×5, first 2 shown]
	v_add_u32_e32 v10, s14, v12
	v_add_u32_e32 v12, v23, v10
	v_cmp_ge_i32_e32 vcc, v12, v6
	s_or_b64 s[10:11], vcc, s[10:11]
	s_andn2_b64 exec, exec, s[10:11]
	s_cbranch_execz .LBB11_84
.LBB11_4:                               ; =>This Inner Loop Header: Depth=1
	s_waitcnt vmcnt(0) lgkmcnt(0)
	v_lshlrev_b64 v[14:15], 2, v[10:11]
	v_add_co_u32_e32 v28, vcc, v0, v14
	v_add_u32_e32 v12, s13, v10
	v_mov_b32_e32 v13, v11
	v_addc_co_u32_e32 v29, vcc, v1, v15, vcc
	v_lshlrev_b64 v[16:17], 2, v[12:13]
	v_add_co_u32_e32 v30, vcc, v0, v16
	v_add_u32_e32 v18, s22, v10
	v_mov_b32_e32 v19, v11
	v_addc_co_u32_e32 v31, vcc, v1, v17, vcc
	;; [unrolled: 5-line block ×3, first 2 shown]
	v_lshlrev_b64 v[38:39], 2, v[34:35]
	v_add_co_u32_e32 v48, vcc, v0, v38
	v_add_u32_e32 v34, s24, v10
	v_addc_co_u32_e32 v49, vcc, v1, v39, vcc
	v_lshlrev_b64 v[50:51], 2, v[34:35]
	v_add_co_u32_e32 v52, vcc, v0, v50
	v_add_u32_e32 v34, s25, v10
	v_addc_co_u32_e32 v53, vcc, v1, v51, vcc
	v_lshlrev_b64 v[54:55], 2, v[34:35]
	v_add_u32_e32 v20, v23, v10
	v_add_co_u32_e32 v40, vcc, v0, v54
	v_add_u32_e32 v10, s26, v10
	v_addc_co_u32_e32 v41, vcc, v1, v55, vcc
	v_lshlrev_b64 v[42:43], 2, v[10:11]
	v_add_co_u32_e32 v44, vcc, v0, v42
	v_mov_b32_e32 v21, v11
	v_addc_co_u32_e32 v45, vcc, v1, v43, vcc
	v_lshlrev_b64 v[46:47], 2, v[20:21]
	v_add_co_u32_e32 v56, vcc, v0, v46
	v_addc_co_u32_e32 v57, vcc, v1, v47, vcc
	v_add_co_u32_e32 v14, vcc, v2, v14
	v_addc_co_u32_e32 v15, vcc, v3, v15, vcc
	;; [unrolled: 2-line block ×4, first 2 shown]
	flat_load_dword v58, v[28:29]
	flat_load_dword v34, v[30:31]
	s_nop 0
	flat_load_dword v30, v[36:37]
	flat_load_dword v28, v[48:49]
	;; [unrolled: 1-line block ×6, first 2 shown]
	v_add_co_u32_e32 v36, vcc, v2, v38
	v_addc_co_u32_e32 v37, vcc, v3, v39, vcc
	v_add_co_u32_e32 v38, vcc, v2, v50
	v_addc_co_u32_e32 v39, vcc, v3, v51, vcc
	v_add_co_u32_e32 v48, vcc, v2, v54
	v_addc_co_u32_e32 v49, vcc, v3, v55, vcc
	v_add_co_u32_e32 v50, vcc, v2, v42
	v_addc_co_u32_e32 v51, vcc, v3, v43, vcc
	v_add_co_u32_e32 v52, vcc, v2, v46
	v_addc_co_u32_e32 v53, vcc, v3, v47, vcc
	flat_load_dword v35, v[14:15]
	flat_load_dword v31, v[16:17]
	;; [unrolled: 1-line block ×3, first 2 shown]
	s_nop 0
	flat_load_dword v19, v[36:37]
	flat_load_dword v18, v[38:39]
	;; [unrolled: 1-line block ×5, first 2 shown]
	s_mov_b64 s[16:17], 0
	s_waitcnt vmcnt(0) lgkmcnt(0)
	v_cmp_gt_i32_e32 vcc, 0, v58
	v_cndmask_b32_e64 v14, v25, 0, vcc
	v_xor_b32_e32 v14, v14, v58
	v_and_b32_e32 v15, v14, v24
	v_cmp_ge_u32_e32 vcc, v15, v33
                                        ; implicit-def: $vgpr14
	s_and_saveexec_b64 s[14:15], vcc
	s_xor_b64 s[14:15], exec, s[14:15]
	s_cbranch_execnz .LBB11_35
; %bb.5:                                ;   in Loop: Header=BB11_4 Depth=1
	s_andn2_saveexec_b64 s[14:15], s[14:15]
	s_cbranch_execnz .LBB11_40
.LBB11_6:                               ;   in Loop: Header=BB11_4 Depth=1
	s_or_b64 exec, exec, s[14:15]
	s_and_saveexec_b64 s[14:15], s[16:17]
	s_cbranch_execz .LBB11_8
.LBB11_7:                               ;   in Loop: Header=BB11_4 Depth=1
	s_waitcnt vmcnt(0) lgkmcnt(0)
	v_ashrrev_i32_e32 v15, 31, v14
	v_lshlrev_b64 v[14:15], 2, v[14:15]
	v_add_co_u32_e32 v14, vcc, v4, v14
	v_addc_co_u32_e32 v15, vcc, v5, v15, vcc
	flat_store_dword v[14:15], v35
.LBB11_8:                               ;   in Loop: Header=BB11_4 Depth=1
	s_or_b64 exec, exec, s[14:15]
	v_cmp_gt_i32_e32 vcc, 0, v34
	s_waitcnt vmcnt(0) lgkmcnt(0)
	v_cndmask_b32_e64 v14, v25, 0, vcc
	v_xor_b32_e32 v14, v14, v34
	v_and_b32_e32 v15, v14, v24
	v_cmp_ge_u32_e32 vcc, v15, v33
	s_mov_b64 s[16:17], 0
                                        ; implicit-def: $vgpr14
	s_and_saveexec_b64 s[14:15], vcc
	s_xor_b64 s[14:15], exec, s[14:15]
	s_cbranch_execnz .LBB11_41
; %bb.9:                                ;   in Loop: Header=BB11_4 Depth=1
	s_andn2_saveexec_b64 s[14:15], s[14:15]
	s_cbranch_execnz .LBB11_46
.LBB11_10:                              ;   in Loop: Header=BB11_4 Depth=1
	s_or_b64 exec, exec, s[14:15]
	s_and_saveexec_b64 s[14:15], s[16:17]
	s_cbranch_execz .LBB11_12
.LBB11_11:                              ;   in Loop: Header=BB11_4 Depth=1
	s_waitcnt vmcnt(0) lgkmcnt(0)
	v_ashrrev_i32_e32 v15, 31, v14
	v_lshlrev_b64 v[14:15], 2, v[14:15]
	v_add_co_u32_e32 v14, vcc, v4, v14
	v_addc_co_u32_e32 v15, vcc, v5, v15, vcc
	flat_store_dword v[14:15], v31
.LBB11_12:                              ;   in Loop: Header=BB11_4 Depth=1
	s_or_b64 exec, exec, s[14:15]
	v_cmp_gt_i32_e32 vcc, 0, v30
	s_waitcnt vmcnt(0) lgkmcnt(0)
	v_cndmask_b32_e64 v14, v25, 0, vcc
	v_xor_b32_e32 v14, v14, v30
	v_and_b32_e32 v15, v14, v24
	v_cmp_ge_u32_e32 vcc, v15, v33
	s_mov_b64 s[16:17], 0
                                        ; implicit-def: $vgpr14
	s_and_saveexec_b64 s[14:15], vcc
	s_xor_b64 s[14:15], exec, s[14:15]
	s_cbranch_execnz .LBB11_47
; %bb.13:                               ;   in Loop: Header=BB11_4 Depth=1
	s_andn2_saveexec_b64 s[14:15], s[14:15]
	s_cbranch_execnz .LBB11_52
.LBB11_14:                              ;   in Loop: Header=BB11_4 Depth=1
	s_or_b64 exec, exec, s[14:15]
	s_and_saveexec_b64 s[14:15], s[16:17]
	s_cbranch_execz .LBB11_16
.LBB11_15:                              ;   in Loop: Header=BB11_4 Depth=1
	s_waitcnt vmcnt(0) lgkmcnt(0)
	v_ashrrev_i32_e32 v15, 31, v14
	v_lshlrev_b64 v[14:15], 2, v[14:15]
	v_add_co_u32_e32 v14, vcc, v4, v14
	v_addc_co_u32_e32 v15, vcc, v5, v15, vcc
	flat_store_dword v[14:15], v29
.LBB11_16:                              ;   in Loop: Header=BB11_4 Depth=1
	s_or_b64 exec, exec, s[14:15]
	v_cmp_gt_i32_e32 vcc, 0, v28
	s_waitcnt vmcnt(0) lgkmcnt(0)
	v_cndmask_b32_e64 v14, v25, 0, vcc
	v_xor_b32_e32 v14, v14, v28
	v_and_b32_e32 v15, v14, v24
	v_cmp_ge_u32_e32 vcc, v15, v33
	s_mov_b64 s[16:17], 0
                                        ; implicit-def: $vgpr14
	s_and_saveexec_b64 s[14:15], vcc
	s_xor_b64 s[14:15], exec, s[14:15]
	s_cbranch_execnz .LBB11_53
; %bb.17:                               ;   in Loop: Header=BB11_4 Depth=1
	s_andn2_saveexec_b64 s[14:15], s[14:15]
	s_cbranch_execnz .LBB11_58
.LBB11_18:                              ;   in Loop: Header=BB11_4 Depth=1
	s_or_b64 exec, exec, s[14:15]
	s_and_saveexec_b64 s[14:15], s[16:17]
	s_cbranch_execz .LBB11_20
.LBB11_19:                              ;   in Loop: Header=BB11_4 Depth=1
	s_waitcnt vmcnt(0) lgkmcnt(0)
	v_ashrrev_i32_e32 v15, 31, v14
	v_lshlrev_b64 v[14:15], 2, v[14:15]
	v_add_co_u32_e32 v14, vcc, v4, v14
	v_addc_co_u32_e32 v15, vcc, v5, v15, vcc
	flat_store_dword v[14:15], v19
.LBB11_20:                              ;   in Loop: Header=BB11_4 Depth=1
	s_or_b64 exec, exec, s[14:15]
	v_cmp_gt_i32_e32 vcc, 0, v27
	s_waitcnt vmcnt(0) lgkmcnt(0)
	v_cndmask_b32_e64 v14, v25, 0, vcc
	v_xor_b32_e32 v14, v14, v27
	v_and_b32_e32 v15, v14, v24
	v_cmp_ge_u32_e32 vcc, v15, v33
	s_mov_b64 s[16:17], 0
                                        ; implicit-def: $vgpr14
	s_and_saveexec_b64 s[14:15], vcc
	s_xor_b64 s[14:15], exec, s[14:15]
	s_cbranch_execnz .LBB11_59
; %bb.21:                               ;   in Loop: Header=BB11_4 Depth=1
	s_andn2_saveexec_b64 s[14:15], s[14:15]
	s_cbranch_execnz .LBB11_64
.LBB11_22:                              ;   in Loop: Header=BB11_4 Depth=1
	s_or_b64 exec, exec, s[14:15]
	s_and_saveexec_b64 s[14:15], s[16:17]
	s_cbranch_execz .LBB11_24
.LBB11_23:                              ;   in Loop: Header=BB11_4 Depth=1
	s_waitcnt vmcnt(0) lgkmcnt(0)
	v_ashrrev_i32_e32 v15, 31, v14
	v_lshlrev_b64 v[14:15], 2, v[14:15]
	v_add_co_u32_e32 v14, vcc, v4, v14
	v_addc_co_u32_e32 v15, vcc, v5, v15, vcc
	flat_store_dword v[14:15], v18
.LBB11_24:                              ;   in Loop: Header=BB11_4 Depth=1
	s_or_b64 exec, exec, s[14:15]
	v_cmp_gt_i32_e32 vcc, 0, v21
	s_waitcnt vmcnt(0) lgkmcnt(0)
	v_cndmask_b32_e64 v14, v25, 0, vcc
	v_xor_b32_e32 v14, v14, v21
	v_and_b32_e32 v15, v14, v24
	v_cmp_ge_u32_e32 vcc, v15, v33
	s_mov_b64 s[16:17], 0
                                        ; implicit-def: $vgpr14
	s_and_saveexec_b64 s[14:15], vcc
	s_xor_b64 s[14:15], exec, s[14:15]
	s_cbranch_execnz .LBB11_65
; %bb.25:                               ;   in Loop: Header=BB11_4 Depth=1
	s_andn2_saveexec_b64 s[14:15], s[14:15]
	s_cbranch_execnz .LBB11_70
.LBB11_26:                              ;   in Loop: Header=BB11_4 Depth=1
	s_or_b64 exec, exec, s[14:15]
	s_and_saveexec_b64 s[14:15], s[16:17]
	s_cbranch_execz .LBB11_28
.LBB11_27:                              ;   in Loop: Header=BB11_4 Depth=1
	s_waitcnt vmcnt(0) lgkmcnt(0)
	v_ashrrev_i32_e32 v15, 31, v14
	v_lshlrev_b64 v[14:15], 2, v[14:15]
	v_add_co_u32_e32 v14, vcc, v4, v14
	v_addc_co_u32_e32 v15, vcc, v5, v15, vcc
	flat_store_dword v[14:15], v17
.LBB11_28:                              ;   in Loop: Header=BB11_4 Depth=1
	s_or_b64 exec, exec, s[14:15]
	v_cmp_gt_i32_e32 vcc, 0, v20
	s_waitcnt vmcnt(0) lgkmcnt(0)
	v_cndmask_b32_e64 v14, v25, 0, vcc
	v_xor_b32_e32 v14, v14, v20
	v_and_b32_e32 v15, v14, v24
	v_cmp_ge_u32_e32 vcc, v15, v33
	s_mov_b64 s[16:17], 0
                                        ; implicit-def: $vgpr14
	s_and_saveexec_b64 s[14:15], vcc
	s_xor_b64 s[14:15], exec, s[14:15]
	s_cbranch_execnz .LBB11_71
; %bb.29:                               ;   in Loop: Header=BB11_4 Depth=1
	s_andn2_saveexec_b64 s[14:15], s[14:15]
	s_cbranch_execnz .LBB11_76
.LBB11_30:                              ;   in Loop: Header=BB11_4 Depth=1
	s_or_b64 exec, exec, s[14:15]
	s_and_saveexec_b64 s[14:15], s[16:17]
	s_cbranch_execz .LBB11_32
.LBB11_31:                              ;   in Loop: Header=BB11_4 Depth=1
	s_waitcnt vmcnt(0) lgkmcnt(0)
	v_ashrrev_i32_e32 v15, 31, v14
	v_lshlrev_b64 v[14:15], 2, v[14:15]
	v_add_co_u32_e32 v14, vcc, v4, v14
	v_addc_co_u32_e32 v15, vcc, v5, v15, vcc
	flat_store_dword v[14:15], v16
.LBB11_32:                              ;   in Loop: Header=BB11_4 Depth=1
	s_or_b64 exec, exec, s[14:15]
	v_cmp_gt_i32_e32 vcc, 0, v13
	s_waitcnt vmcnt(0) lgkmcnt(0)
	v_cndmask_b32_e64 v14, v25, 0, vcc
	v_xor_b32_e32 v13, v14, v13
	v_and_b32_e32 v13, v13, v24
	v_cmp_ge_u32_e32 vcc, v13, v33
	s_mov_b64 s[16:17], 0
                                        ; implicit-def: $vgpr14
	s_and_saveexec_b64 s[14:15], vcc
	s_xor_b64 s[14:15], exec, s[14:15]
	s_cbranch_execnz .LBB11_77
; %bb.33:                               ;   in Loop: Header=BB11_4 Depth=1
	s_andn2_saveexec_b64 s[14:15], s[14:15]
	s_cbranch_execnz .LBB11_82
.LBB11_34:                              ;   in Loop: Header=BB11_4 Depth=1
	s_or_b64 exec, exec, s[14:15]
	s_and_saveexec_b64 s[14:15], s[16:17]
	s_cbranch_execz .LBB11_3
	s_branch .LBB11_83
.LBB11_35:                              ;   in Loop: Header=BB11_4 Depth=1
	v_cmp_eq_u32_e32 vcc, v15, v33
	s_mov_b64 s[18:19], 0
                                        ; implicit-def: $vgpr14
	s_and_saveexec_b64 s[16:17], vcc
	s_cbranch_execz .LBB11_39
; %bb.36:                               ;   in Loop: Header=BB11_4 Depth=1
	flat_atomic_add v15, v[8:9], v26 offset:512 glc
                                        ; implicit-def: $vgpr14
	s_waitcnt vmcnt(0) lgkmcnt(0)
	v_cmp_lt_i32_e32 vcc, v15, v32
	s_and_saveexec_b64 s[20:21], vcc
	s_xor_b64 s[20:21], exec, s[20:21]
; %bb.37:                               ;   in Loop: Header=BB11_4 Depth=1
	s_mov_b64 s[18:19], exec
	v_xad_u32 v14, v15, -1, v7
; %bb.38:                               ;   in Loop: Header=BB11_4 Depth=1
	s_or_b64 exec, exec, s[20:21]
	s_and_b64 s[18:19], s[18:19], exec
.LBB11_39:                              ;   in Loop: Header=BB11_4 Depth=1
	s_or_b64 exec, exec, s[16:17]
	s_and_b64 s[16:17], s[18:19], exec
	s_andn2_saveexec_b64 s[14:15], s[14:15]
	s_cbranch_execz .LBB11_6
.LBB11_40:                              ;   in Loop: Header=BB11_4 Depth=1
	flat_atomic_add v14, v[8:9], v26 offset:384 glc
	s_or_b64 s[16:17], s[16:17], exec
	s_or_b64 exec, exec, s[14:15]
	s_and_saveexec_b64 s[14:15], s[16:17]
	s_cbranch_execnz .LBB11_7
	s_branch .LBB11_8
.LBB11_41:                              ;   in Loop: Header=BB11_4 Depth=1
	v_cmp_eq_u32_e32 vcc, v15, v33
	s_mov_b64 s[18:19], 0
                                        ; implicit-def: $vgpr14
	s_and_saveexec_b64 s[16:17], vcc
	s_cbranch_execz .LBB11_45
; %bb.42:                               ;   in Loop: Header=BB11_4 Depth=1
	flat_atomic_add v15, v[8:9], v26 offset:512 glc
                                        ; implicit-def: $vgpr14
	s_waitcnt vmcnt(0) lgkmcnt(0)
	v_cmp_lt_i32_e32 vcc, v15, v32
	s_and_saveexec_b64 s[20:21], vcc
	s_xor_b64 s[20:21], exec, s[20:21]
; %bb.43:                               ;   in Loop: Header=BB11_4 Depth=1
	s_mov_b64 s[18:19], exec
	v_xad_u32 v14, v15, -1, v7
; %bb.44:                               ;   in Loop: Header=BB11_4 Depth=1
	s_or_b64 exec, exec, s[20:21]
	s_and_b64 s[18:19], s[18:19], exec
.LBB11_45:                              ;   in Loop: Header=BB11_4 Depth=1
	s_or_b64 exec, exec, s[16:17]
	s_and_b64 s[16:17], s[18:19], exec
	s_andn2_saveexec_b64 s[14:15], s[14:15]
	s_cbranch_execz .LBB11_10
.LBB11_46:                              ;   in Loop: Header=BB11_4 Depth=1
	flat_atomic_add v14, v[8:9], v26 offset:384 glc
	s_or_b64 s[16:17], s[16:17], exec
	s_or_b64 exec, exec, s[14:15]
	s_and_saveexec_b64 s[14:15], s[16:17]
	s_cbranch_execnz .LBB11_11
	s_branch .LBB11_12
.LBB11_47:                              ;   in Loop: Header=BB11_4 Depth=1
	v_cmp_eq_u32_e32 vcc, v15, v33
	s_mov_b64 s[18:19], 0
                                        ; implicit-def: $vgpr14
	s_and_saveexec_b64 s[16:17], vcc
	s_cbranch_execz .LBB11_51
; %bb.48:                               ;   in Loop: Header=BB11_4 Depth=1
	flat_atomic_add v15, v[8:9], v26 offset:512 glc
                                        ; implicit-def: $vgpr14
	s_waitcnt vmcnt(0) lgkmcnt(0)
	v_cmp_lt_i32_e32 vcc, v15, v32
	s_and_saveexec_b64 s[20:21], vcc
	s_xor_b64 s[20:21], exec, s[20:21]
; %bb.49:                               ;   in Loop: Header=BB11_4 Depth=1
	s_mov_b64 s[18:19], exec
	v_xad_u32 v14, v15, -1, v7
; %bb.50:                               ;   in Loop: Header=BB11_4 Depth=1
	s_or_b64 exec, exec, s[20:21]
	s_and_b64 s[18:19], s[18:19], exec
.LBB11_51:                              ;   in Loop: Header=BB11_4 Depth=1
	s_or_b64 exec, exec, s[16:17]
	s_and_b64 s[16:17], s[18:19], exec
	s_andn2_saveexec_b64 s[14:15], s[14:15]
	s_cbranch_execz .LBB11_14
.LBB11_52:                              ;   in Loop: Header=BB11_4 Depth=1
	flat_atomic_add v14, v[8:9], v26 offset:384 glc
	s_or_b64 s[16:17], s[16:17], exec
	s_or_b64 exec, exec, s[14:15]
	s_and_saveexec_b64 s[14:15], s[16:17]
	s_cbranch_execnz .LBB11_15
	s_branch .LBB11_16
.LBB11_53:                              ;   in Loop: Header=BB11_4 Depth=1
	v_cmp_eq_u32_e32 vcc, v15, v33
	s_mov_b64 s[18:19], 0
                                        ; implicit-def: $vgpr14
	s_and_saveexec_b64 s[16:17], vcc
	s_cbranch_execz .LBB11_57
; %bb.54:                               ;   in Loop: Header=BB11_4 Depth=1
	flat_atomic_add v15, v[8:9], v26 offset:512 glc
                                        ; implicit-def: $vgpr14
	s_waitcnt vmcnt(0) lgkmcnt(0)
	v_cmp_lt_i32_e32 vcc, v15, v32
	s_and_saveexec_b64 s[20:21], vcc
	s_xor_b64 s[20:21], exec, s[20:21]
; %bb.55:                               ;   in Loop: Header=BB11_4 Depth=1
	s_mov_b64 s[18:19], exec
	v_xad_u32 v14, v15, -1, v7
; %bb.56:                               ;   in Loop: Header=BB11_4 Depth=1
	s_or_b64 exec, exec, s[20:21]
	s_and_b64 s[18:19], s[18:19], exec
.LBB11_57:                              ;   in Loop: Header=BB11_4 Depth=1
	s_or_b64 exec, exec, s[16:17]
	s_and_b64 s[16:17], s[18:19], exec
	s_andn2_saveexec_b64 s[14:15], s[14:15]
	s_cbranch_execz .LBB11_18
.LBB11_58:                              ;   in Loop: Header=BB11_4 Depth=1
	flat_atomic_add v14, v[8:9], v26 offset:384 glc
	s_or_b64 s[16:17], s[16:17], exec
	s_or_b64 exec, exec, s[14:15]
	s_and_saveexec_b64 s[14:15], s[16:17]
	s_cbranch_execnz .LBB11_19
	s_branch .LBB11_20
.LBB11_59:                              ;   in Loop: Header=BB11_4 Depth=1
	v_cmp_eq_u32_e32 vcc, v15, v33
	s_mov_b64 s[18:19], 0
                                        ; implicit-def: $vgpr14
	s_and_saveexec_b64 s[16:17], vcc
	s_cbranch_execz .LBB11_63
; %bb.60:                               ;   in Loop: Header=BB11_4 Depth=1
	flat_atomic_add v15, v[8:9], v26 offset:512 glc
                                        ; implicit-def: $vgpr14
	s_waitcnt vmcnt(0) lgkmcnt(0)
	v_cmp_lt_i32_e32 vcc, v15, v32
	s_and_saveexec_b64 s[20:21], vcc
	s_xor_b64 s[20:21], exec, s[20:21]
; %bb.61:                               ;   in Loop: Header=BB11_4 Depth=1
	s_mov_b64 s[18:19], exec
	v_xad_u32 v14, v15, -1, v7
; %bb.62:                               ;   in Loop: Header=BB11_4 Depth=1
	s_or_b64 exec, exec, s[20:21]
	s_and_b64 s[18:19], s[18:19], exec
.LBB11_63:                              ;   in Loop: Header=BB11_4 Depth=1
	s_or_b64 exec, exec, s[16:17]
	s_and_b64 s[16:17], s[18:19], exec
	s_andn2_saveexec_b64 s[14:15], s[14:15]
	s_cbranch_execz .LBB11_22
.LBB11_64:                              ;   in Loop: Header=BB11_4 Depth=1
	flat_atomic_add v14, v[8:9], v26 offset:384 glc
	s_or_b64 s[16:17], s[16:17], exec
	s_or_b64 exec, exec, s[14:15]
	s_and_saveexec_b64 s[14:15], s[16:17]
	s_cbranch_execnz .LBB11_23
	s_branch .LBB11_24
.LBB11_65:                              ;   in Loop: Header=BB11_4 Depth=1
	v_cmp_eq_u32_e32 vcc, v15, v33
	s_mov_b64 s[18:19], 0
                                        ; implicit-def: $vgpr14
	s_and_saveexec_b64 s[16:17], vcc
	s_cbranch_execz .LBB11_69
; %bb.66:                               ;   in Loop: Header=BB11_4 Depth=1
	flat_atomic_add v15, v[8:9], v26 offset:512 glc
                                        ; implicit-def: $vgpr14
	s_waitcnt vmcnt(0) lgkmcnt(0)
	v_cmp_lt_i32_e32 vcc, v15, v32
	s_and_saveexec_b64 s[20:21], vcc
	s_xor_b64 s[20:21], exec, s[20:21]
; %bb.67:                               ;   in Loop: Header=BB11_4 Depth=1
	s_mov_b64 s[18:19], exec
	v_xad_u32 v14, v15, -1, v7
; %bb.68:                               ;   in Loop: Header=BB11_4 Depth=1
	s_or_b64 exec, exec, s[20:21]
	s_and_b64 s[18:19], s[18:19], exec
.LBB11_69:                              ;   in Loop: Header=BB11_4 Depth=1
	s_or_b64 exec, exec, s[16:17]
	s_and_b64 s[16:17], s[18:19], exec
	s_andn2_saveexec_b64 s[14:15], s[14:15]
	s_cbranch_execz .LBB11_26
.LBB11_70:                              ;   in Loop: Header=BB11_4 Depth=1
	flat_atomic_add v14, v[8:9], v26 offset:384 glc
	s_or_b64 s[16:17], s[16:17], exec
	s_or_b64 exec, exec, s[14:15]
	s_and_saveexec_b64 s[14:15], s[16:17]
	s_cbranch_execnz .LBB11_27
	s_branch .LBB11_28
.LBB11_71:                              ;   in Loop: Header=BB11_4 Depth=1
	v_cmp_eq_u32_e32 vcc, v15, v33
	s_mov_b64 s[18:19], 0
                                        ; implicit-def: $vgpr14
	s_and_saveexec_b64 s[16:17], vcc
	s_cbranch_execz .LBB11_75
; %bb.72:                               ;   in Loop: Header=BB11_4 Depth=1
	flat_atomic_add v15, v[8:9], v26 offset:512 glc
                                        ; implicit-def: $vgpr14
	s_waitcnt vmcnt(0) lgkmcnt(0)
	v_cmp_lt_i32_e32 vcc, v15, v32
	s_and_saveexec_b64 s[20:21], vcc
	s_xor_b64 s[20:21], exec, s[20:21]
; %bb.73:                               ;   in Loop: Header=BB11_4 Depth=1
	s_mov_b64 s[18:19], exec
	v_xad_u32 v14, v15, -1, v7
; %bb.74:                               ;   in Loop: Header=BB11_4 Depth=1
	s_or_b64 exec, exec, s[20:21]
	s_and_b64 s[18:19], s[18:19], exec
.LBB11_75:                              ;   in Loop: Header=BB11_4 Depth=1
	s_or_b64 exec, exec, s[16:17]
	s_and_b64 s[16:17], s[18:19], exec
	s_andn2_saveexec_b64 s[14:15], s[14:15]
	s_cbranch_execz .LBB11_30
.LBB11_76:                              ;   in Loop: Header=BB11_4 Depth=1
	flat_atomic_add v14, v[8:9], v26 offset:384 glc
	s_or_b64 s[16:17], s[16:17], exec
	s_or_b64 exec, exec, s[14:15]
	s_and_saveexec_b64 s[14:15], s[16:17]
	s_cbranch_execnz .LBB11_31
	s_branch .LBB11_32
.LBB11_77:                              ;   in Loop: Header=BB11_4 Depth=1
	v_cmp_eq_u32_e32 vcc, v13, v33
	s_mov_b64 s[18:19], 0
                                        ; implicit-def: $vgpr14
	s_and_saveexec_b64 s[16:17], vcc
	s_cbranch_execz .LBB11_81
; %bb.78:                               ;   in Loop: Header=BB11_4 Depth=1
	flat_atomic_add v13, v[8:9], v26 offset:512 glc
                                        ; implicit-def: $vgpr14
	s_waitcnt vmcnt(0) lgkmcnt(0)
	v_cmp_lt_i32_e32 vcc, v13, v32
	s_and_saveexec_b64 s[20:21], vcc
	s_xor_b64 s[20:21], exec, s[20:21]
; %bb.79:                               ;   in Loop: Header=BB11_4 Depth=1
	s_mov_b64 s[18:19], exec
	v_xad_u32 v14, v13, -1, v7
; %bb.80:                               ;   in Loop: Header=BB11_4 Depth=1
	s_or_b64 exec, exec, s[20:21]
	s_and_b64 s[18:19], s[18:19], exec
.LBB11_81:                              ;   in Loop: Header=BB11_4 Depth=1
	s_or_b64 exec, exec, s[16:17]
	s_and_b64 s[16:17], s[18:19], exec
	s_andn2_saveexec_b64 s[14:15], s[14:15]
	s_cbranch_execz .LBB11_34
.LBB11_82:                              ;   in Loop: Header=BB11_4 Depth=1
	flat_atomic_add v14, v[8:9], v26 offset:384 glc
	s_or_b64 s[16:17], s[16:17], exec
	s_or_b64 exec, exec, s[14:15]
	s_and_saveexec_b64 s[14:15], s[16:17]
	s_cbranch_execz .LBB11_3
.LBB11_83:                              ;   in Loop: Header=BB11_4 Depth=1
	s_waitcnt vmcnt(0) lgkmcnt(0)
	v_ashrrev_i32_e32 v15, 31, v14
	v_lshlrev_b64 v[14:15], 2, v[14:15]
	v_add_co_u32_e32 v14, vcc, v4, v14
	v_addc_co_u32_e32 v15, vcc, v5, v15, vcc
	flat_store_dword v[14:15], v10
	s_branch .LBB11_3
.LBB11_84:
	s_or_b64 exec, exec, s[10:11]
.LBB11_85:
	s_or_b64 exec, exec, s[6:7]
	v_cmp_lt_i32_e32 vcc, v10, v6
	s_and_saveexec_b64 s[6:7], vcc
	s_cbranch_execz .LBB11_98
; %bb.86:
	s_mov_b32 s14, 0
	v_mov_b32_e32 v11, 0
	v_lshlrev_b32_e64 v16, v22, -1
	v_lshlrev_b64 v[12:13], 2, v[10:11]
	s_lshl_b32 s22, s13, 2
	s_mov_b64 s[10:11], 0
	v_bfrev_b32_e32 v11, -2
	v_mov_b32_e32 v17, 1
	v_mov_b32_e32 v18, s14
	s_branch .LBB11_88
.LBB11_87:                              ;   in Loop: Header=BB11_88 Depth=1
	s_or_b64 exec, exec, s[14:15]
	v_add_u32_e32 v10, s13, v10
	v_cmp_ge_i32_e32 vcc, v10, v6
	s_or_b64 s[10:11], vcc, s[10:11]
	v_add_co_u32_e32 v12, vcc, s22, v12
	v_addc_co_u32_e32 v13, vcc, v13, v18, vcc
	s_andn2_b64 exec, exec, s[10:11]
	s_cbranch_execz .LBB11_98
.LBB11_88:                              ; =>This Inner Loop Header: Depth=1
	s_waitcnt vmcnt(0) lgkmcnt(0)
	v_add_co_u32_e32 v14, vcc, v0, v12
	v_addc_co_u32_e32 v15, vcc, v1, v13, vcc
	flat_load_dword v20, v[14:15]
	v_add_co_u32_e32 v14, vcc, v2, v12
	v_addc_co_u32_e32 v15, vcc, v3, v13, vcc
	flat_load_dword v19, v[14:15]
	s_mov_b64 s[16:17], 0
	s_waitcnt vmcnt(0) lgkmcnt(0)
	v_cmp_gt_i32_e32 vcc, 0, v20
	v_cndmask_b32_e64 v14, v11, 0, vcc
	v_xor_b32_e32 v14, v14, v20
	v_and_b32_e32 v15, v14, v16
	v_cmp_ge_u32_e32 vcc, v15, v33
                                        ; implicit-def: $vgpr14
	s_and_saveexec_b64 s[14:15], vcc
	s_xor_b64 s[14:15], exec, s[14:15]
	s_cbranch_execnz .LBB11_91
; %bb.89:                               ;   in Loop: Header=BB11_88 Depth=1
	s_andn2_saveexec_b64 s[14:15], s[14:15]
	s_cbranch_execnz .LBB11_96
.LBB11_90:                              ;   in Loop: Header=BB11_88 Depth=1
	s_or_b64 exec, exec, s[14:15]
	s_and_saveexec_b64 s[14:15], s[16:17]
	s_cbranch_execz .LBB11_87
	s_branch .LBB11_97
.LBB11_91:                              ;   in Loop: Header=BB11_88 Depth=1
	v_cmp_eq_u32_e32 vcc, v15, v33
	s_mov_b64 s[18:19], 0
                                        ; implicit-def: $vgpr14
	s_and_saveexec_b64 s[16:17], vcc
	s_cbranch_execz .LBB11_95
; %bb.92:                               ;   in Loop: Header=BB11_88 Depth=1
	flat_atomic_add v15, v[8:9], v17 offset:512 glc
                                        ; implicit-def: $vgpr14
	s_waitcnt vmcnt(0) lgkmcnt(0)
	v_cmp_lt_i32_e32 vcc, v15, v32
	s_and_saveexec_b64 s[20:21], vcc
	s_xor_b64 s[20:21], exec, s[20:21]
; %bb.93:                               ;   in Loop: Header=BB11_88 Depth=1
	s_mov_b64 s[18:19], exec
	v_xad_u32 v14, v15, -1, v7
; %bb.94:                               ;   in Loop: Header=BB11_88 Depth=1
	s_or_b64 exec, exec, s[20:21]
	s_and_b64 s[18:19], s[18:19], exec
.LBB11_95:                              ;   in Loop: Header=BB11_88 Depth=1
	s_or_b64 exec, exec, s[16:17]
	s_and_b64 s[16:17], s[18:19], exec
	s_andn2_saveexec_b64 s[14:15], s[14:15]
	s_cbranch_execz .LBB11_90
.LBB11_96:                              ;   in Loop: Header=BB11_88 Depth=1
	flat_atomic_add v14, v[8:9], v17 offset:384 glc
	s_or_b64 s[16:17], s[16:17], exec
	s_or_b64 exec, exec, s[14:15]
	s_and_saveexec_b64 s[14:15], s[16:17]
	s_cbranch_execz .LBB11_87
.LBB11_97:                              ;   in Loop: Header=BB11_88 Depth=1
	s_waitcnt vmcnt(0) lgkmcnt(0)
	v_ashrrev_i32_e32 v15, 31, v14
	v_lshlrev_b64 v[14:15], 2, v[14:15]
	v_add_co_u32_e32 v14, vcc, v4, v14
	v_addc_co_u32_e32 v15, vcc, v5, v15, vcc
	flat_store_dword v[14:15], v19
	s_branch .LBB11_87
.LBB11_98:
	s_or_b64 exec, exec, s[6:7]
                                        ; implicit-def: $vgpr33
                                        ; implicit-def: $vgpr22
                                        ; implicit-def: $vgpr32
                                        ; implicit-def: $vgpr0
                                        ; implicit-def: $vgpr1
                                        ; implicit-def: $vgpr4
                                        ; implicit-def: $vgpr5
                                        ; implicit-def: $vgpr6
                                        ; implicit-def: $vgpr7
                                        ; implicit-def: $vgpr31
                                        ; implicit-def: $vgpr8_vgpr9
.LBB11_99:
	s_andn2_saveexec_b64 s[4:5], s[4:5]
	s_cbranch_execz .LBB11_318
; %bb.100:
	s_load_dword s6, s[8:9], 0x0
	v_mov_b32_e32 v3, 0
	v_and_b32_e32 v10, 15, v0
	v_mov_b32_e32 v11, v3
	v_sub_u32_e32 v13, 16, v10
	s_waitcnt lgkmcnt(0)
	s_cmp_lt_u32 s12, s6
	s_cselect_b32 s6, 12, 18
	s_add_u32 s6, s8, s6
	s_addc_u32 s7, s9, 0
	global_load_ushort v12, v3, s[6:7]
	v_lshrrev_b32_e32 v13, 2, v13
	v_cmp_ne_u64_e32 vcc, 0, v[10:11]
	v_cndmask_b32_e32 v10, 0, v13, vcc
	v_lshlrev_b32_e64 v34, v22, -1
	v_min_i32_e32 v22, v10, v6
	v_ashrrev_i32_e32 v23, 31, v22
	v_sub_u32_e32 v13, v6, v22
	v_lshlrev_b64 v[10:11], 2, v[22:23]
	s_waitcnt vmcnt(0)
	v_ashrrev_i32_e32 v14, 31, v13
	v_add_co_u32_e32 v23, vcc, v0, v10
	v_lshrrev_b32_e32 v10, 30, v14
	v_add_u32_e32 v10, v13, v10
	v_and_b32_e32 v2, 0x3ff, v31
	v_ashrrev_i32_e32 v24, 2, v10
	v_addc_co_u32_e32 v35, vcc, v1, v11, vcc
	v_ashrrev_i32_e32 v25, 31, v24
	s_mov_b64 s[6:7], 0
	v_mov_b32_e32 v26, v2
	v_and_b32_e32 v36, 0xffff, v12
	v_mad_u64_u32 v[28:29], s[8:9], v36, 3, v[2:3]
	v_lshlrev_b32_e32 v37, 2, v36
	v_cmp_lt_u64_e32 vcc, v[28:29], v[24:25]
	s_and_saveexec_b64 s[8:9], vcc
	s_cbranch_execz .LBB11_264
; %bb.101:
	v_mul_lo_u32 v38, v36, 3
	v_lshlrev_b32_e32 v39, 4, v36
	v_bfrev_b32_e32 v48, -2
	v_mov_b32_e32 v49, 1
	v_pk_mov_b32 v[26:27], v[2:3], v[2:3] op_sel:[0,1]
	s_branch .LBB11_103
.LBB11_102:                             ;   in Loop: Header=BB11_103 Depth=1
	s_or_b64 exec, exec, s[10:11]
	v_add_u32_e32 v26, v37, v26
	v_ashrrev_i32_e32 v27, 31, v26
	v_add_co_u32_e32 v28, vcc, v38, v26
	v_addc_co_u32_e32 v29, vcc, 0, v27, vcc
	v_cmp_ge_u64_e32 vcc, v[28:29], v[24:25]
	s_or_b64 s[6:7], vcc, s[6:7]
	s_andn2_b64 exec, exec, s[6:7]
	s_cbranch_execz .LBB11_263
.LBB11_103:                             ; =>This Inner Loop Header: Depth=1
	s_waitcnt vmcnt(0) lgkmcnt(0)
	v_lshlrev_b64 v[10:11], 4, v[26:27]
	v_add_co_u32_e32 v14, vcc, v23, v10
	v_addc_co_u32_e32 v15, vcc, v35, v11, vcc
	flat_load_dwordx4 v[10:13], v[14:15]
	v_add_co_u32_e32 v18, vcc, v14, v39
	v_addc_co_u32_e32 v19, vcc, 0, v15, vcc
	flat_load_dwordx4 v[14:17], v[18:19]
	s_mov_b64 s[12:13], 0
                                        ; implicit-def: $vgpr20
	s_waitcnt vmcnt(0) lgkmcnt(0)
	v_cmp_gt_i32_e32 vcc, 0, v10
	v_cndmask_b32_e64 v3, v48, 0, vcc
	v_xor_b32_e32 v3, v3, v10
	v_and_b32_e32 v3, v3, v34
	v_cmp_ge_u32_e32 vcc, v3, v33
	s_and_saveexec_b64 s[10:11], vcc
	s_xor_b64 s[10:11], exec, s[10:11]
	s_cbranch_execnz .LBB11_178
; %bb.104:                              ;   in Loop: Header=BB11_103 Depth=1
	s_andn2_saveexec_b64 s[10:11], s[10:11]
	s_cbranch_execnz .LBB11_183
.LBB11_105:                             ;   in Loop: Header=BB11_103 Depth=1
	s_or_b64 exec, exec, s[10:11]
	v_lshl_add_u32 v3, v26, 2, v22
	s_and_saveexec_b64 s[10:11], s[12:13]
	s_cbranch_execz .LBB11_107
.LBB11_106:                             ;   in Loop: Header=BB11_103 Depth=1
	s_waitcnt vmcnt(0) lgkmcnt(0)
	v_ashrrev_i32_e32 v21, 31, v20
	v_lshlrev_b64 v[20:21], 2, v[20:21]
	v_add_co_u32_e32 v20, vcc, v4, v20
	v_addc_co_u32_e32 v21, vcc, v5, v21, vcc
	flat_store_dword v[20:21], v3
.LBB11_107:                             ;   in Loop: Header=BB11_103 Depth=1
	s_or_b64 exec, exec, s[10:11]
	v_cmp_gt_i32_e32 vcc, 0, v11
	v_cndmask_b32_e64 v10, v48, 0, vcc
	v_xor_b32_e32 v10, v10, v11
	v_and_b32_e32 v11, v10, v34
	v_cmp_ge_u32_e32 vcc, v11, v33
	s_mov_b64 s[12:13], 0
                                        ; implicit-def: $vgpr10
	s_and_saveexec_b64 s[10:11], vcc
	s_xor_b64 s[10:11], exec, s[10:11]
	s_cbranch_execnz .LBB11_184
; %bb.108:                              ;   in Loop: Header=BB11_103 Depth=1
	s_andn2_saveexec_b64 s[10:11], s[10:11]
	s_cbranch_execnz .LBB11_189
.LBB11_109:                             ;   in Loop: Header=BB11_103 Depth=1
	s_or_b64 exec, exec, s[10:11]
	s_and_saveexec_b64 s[10:11], s[12:13]
	s_cbranch_execz .LBB11_111
.LBB11_110:                             ;   in Loop: Header=BB11_103 Depth=1
	s_waitcnt vmcnt(0) lgkmcnt(0)
	v_ashrrev_i32_e32 v11, 31, v10
	v_lshlrev_b64 v[10:11], 2, v[10:11]
	v_add_co_u32_e32 v10, vcc, v4, v10
	v_add_u32_e32 v20, 1, v3
	v_addc_co_u32_e32 v11, vcc, v5, v11, vcc
	flat_store_dword v[10:11], v20
.LBB11_111:                             ;   in Loop: Header=BB11_103 Depth=1
	s_or_b64 exec, exec, s[10:11]
	v_cmp_gt_i32_e32 vcc, 0, v12
	s_waitcnt vmcnt(0) lgkmcnt(0)
	v_cndmask_b32_e64 v10, v48, 0, vcc
	v_xor_b32_e32 v10, v10, v12
	v_and_b32_e32 v11, v10, v34
	v_cmp_ge_u32_e32 vcc, v11, v33
	s_mov_b64 s[12:13], 0
                                        ; implicit-def: $vgpr10
	s_and_saveexec_b64 s[10:11], vcc
	s_xor_b64 s[10:11], exec, s[10:11]
	s_cbranch_execnz .LBB11_190
; %bb.112:                              ;   in Loop: Header=BB11_103 Depth=1
	s_andn2_saveexec_b64 s[10:11], s[10:11]
	s_cbranch_execnz .LBB11_195
.LBB11_113:                             ;   in Loop: Header=BB11_103 Depth=1
	s_or_b64 exec, exec, s[10:11]
	s_and_saveexec_b64 s[10:11], s[12:13]
	s_cbranch_execz .LBB11_115
.LBB11_114:                             ;   in Loop: Header=BB11_103 Depth=1
	s_waitcnt vmcnt(0) lgkmcnt(0)
	v_ashrrev_i32_e32 v11, 31, v10
	v_lshlrev_b64 v[10:11], 2, v[10:11]
	v_add_co_u32_e32 v10, vcc, v4, v10
	v_add_u32_e32 v12, 2, v3
	v_addc_co_u32_e32 v11, vcc, v5, v11, vcc
	flat_store_dword v[10:11], v12
.LBB11_115:                             ;   in Loop: Header=BB11_103 Depth=1
	s_or_b64 exec, exec, s[10:11]
	v_cmp_gt_i32_e32 vcc, 0, v13
	s_waitcnt vmcnt(0) lgkmcnt(0)
	v_cndmask_b32_e64 v10, v48, 0, vcc
	v_xor_b32_e32 v10, v10, v13
	v_and_b32_e32 v11, v10, v34
	v_cmp_ge_u32_e32 vcc, v11, v33
	s_mov_b64 s[12:13], 0
                                        ; implicit-def: $vgpr10
	s_and_saveexec_b64 s[10:11], vcc
	s_xor_b64 s[10:11], exec, s[10:11]
	s_cbranch_execnz .LBB11_196
; %bb.116:                              ;   in Loop: Header=BB11_103 Depth=1
	s_andn2_saveexec_b64 s[10:11], s[10:11]
	s_cbranch_execnz .LBB11_201
.LBB11_117:                             ;   in Loop: Header=BB11_103 Depth=1
	s_or_b64 exec, exec, s[10:11]
	s_and_saveexec_b64 s[10:11], s[12:13]
	s_cbranch_execz .LBB11_119
.LBB11_118:                             ;   in Loop: Header=BB11_103 Depth=1
	s_waitcnt vmcnt(0) lgkmcnt(0)
	v_ashrrev_i32_e32 v11, 31, v10
	v_lshlrev_b64 v[10:11], 2, v[10:11]
	v_add_co_u32_e32 v10, vcc, v4, v10
	v_add_u32_e32 v3, 3, v3
	v_addc_co_u32_e32 v11, vcc, v5, v11, vcc
	flat_store_dword v[10:11], v3
.LBB11_119:                             ;   in Loop: Header=BB11_103 Depth=1
	s_or_b64 exec, exec, s[10:11]
	s_waitcnt vmcnt(0) lgkmcnt(0)
	v_add_co_u32_e32 v10, vcc, v18, v39
	v_addc_co_u32_e32 v11, vcc, 0, v19, vcc
	v_lshlrev_b64 v[12:13], 4, v[28:29]
	v_add_co_u32_e32 v12, vcc, v23, v12
	v_addc_co_u32_e32 v13, vcc, v35, v13, vcc
	flat_load_dwordx4 v[18:21], v[10:11]
	s_nop 0
	flat_load_dwordx4 v[10:13], v[12:13]
	v_cmp_gt_i32_e32 vcc, 0, v14
	v_cndmask_b32_e64 v3, v48, 0, vcc
	v_xor_b32_e32 v3, v3, v14
	v_and_b32_e32 v3, v3, v34
	v_cmp_ge_u32_e32 vcc, v3, v33
	s_mov_b64 s[12:13], 0
                                        ; implicit-def: $vgpr30
	s_and_saveexec_b64 s[10:11], vcc
	s_xor_b64 s[10:11], exec, s[10:11]
	s_cbranch_execz .LBB11_125
; %bb.120:                              ;   in Loop: Header=BB11_103 Depth=1
	v_cmp_eq_u32_e32 vcc, v3, v33
	s_mov_b64 s[14:15], 0
                                        ; implicit-def: $vgpr30
	s_and_saveexec_b64 s[12:13], vcc
	s_cbranch_execz .LBB11_124
; %bb.121:                              ;   in Loop: Header=BB11_103 Depth=1
	flat_atomic_add v3, v[8:9], v49 offset:512 glc
                                        ; implicit-def: $vgpr30
	s_waitcnt vmcnt(0) lgkmcnt(0)
	v_cmp_lt_i32_e32 vcc, v3, v32
	s_and_saveexec_b64 s[16:17], vcc
	s_xor_b64 s[16:17], exec, s[16:17]
; %bb.122:                              ;   in Loop: Header=BB11_103 Depth=1
	s_mov_b64 s[14:15], exec
	v_xad_u32 v30, v3, -1, v7
; %bb.123:                              ;   in Loop: Header=BB11_103 Depth=1
	s_or_b64 exec, exec, s[16:17]
	s_and_b64 s[14:15], s[14:15], exec
.LBB11_124:                             ;   in Loop: Header=BB11_103 Depth=1
	s_or_b64 exec, exec, s[12:13]
	s_and_b64 s[12:13], s[14:15], exec
.LBB11_125:                             ;   in Loop: Header=BB11_103 Depth=1
	s_andn2_saveexec_b64 s[10:11], s[10:11]
	s_cbranch_execz .LBB11_127
; %bb.126:                              ;   in Loop: Header=BB11_103 Depth=1
	flat_atomic_add v30, v[8:9], v49 offset:384 glc
	s_or_b64 s[12:13], s[12:13], exec
.LBB11_127:                             ;   in Loop: Header=BB11_103 Depth=1
	s_or_b64 exec, exec, s[10:11]
	v_add_co_u32_e32 v3, vcc, v26, v36
	v_lshl_add_u32 v27, v3, 2, v22
	s_and_saveexec_b64 s[10:11], s[12:13]
	s_cbranch_execz .LBB11_129
; %bb.128:                              ;   in Loop: Header=BB11_103 Depth=1
	s_waitcnt vmcnt(0) lgkmcnt(0)
	v_ashrrev_i32_e32 v31, 31, v30
	v_lshlrev_b64 v[30:31], 2, v[30:31]
	v_add_co_u32_e32 v30, vcc, v4, v30
	v_addc_co_u32_e32 v31, vcc, v5, v31, vcc
	flat_store_dword v[30:31], v27
.LBB11_129:                             ;   in Loop: Header=BB11_103 Depth=1
	s_or_b64 exec, exec, s[10:11]
	v_cmp_gt_i32_e32 vcc, 0, v15
	v_cndmask_b32_e64 v14, v48, 0, vcc
	v_xor_b32_e32 v14, v14, v15
	v_and_b32_e32 v15, v14, v34
	v_cmp_ge_u32_e32 vcc, v15, v33
	s_mov_b64 s[12:13], 0
                                        ; implicit-def: $vgpr14
	s_and_saveexec_b64 s[10:11], vcc
	s_xor_b64 s[10:11], exec, s[10:11]
	s_cbranch_execnz .LBB11_202
; %bb.130:                              ;   in Loop: Header=BB11_103 Depth=1
	s_andn2_saveexec_b64 s[10:11], s[10:11]
	s_cbranch_execnz .LBB11_207
.LBB11_131:                             ;   in Loop: Header=BB11_103 Depth=1
	s_or_b64 exec, exec, s[10:11]
	s_and_saveexec_b64 s[10:11], s[12:13]
	s_cbranch_execz .LBB11_133
.LBB11_132:                             ;   in Loop: Header=BB11_103 Depth=1
	s_waitcnt vmcnt(0) lgkmcnt(0)
	v_ashrrev_i32_e32 v15, 31, v14
	v_lshlrev_b64 v[14:15], 2, v[14:15]
	v_add_co_u32_e32 v14, vcc, v4, v14
	v_add_u32_e32 v29, 1, v27
	v_addc_co_u32_e32 v15, vcc, v5, v15, vcc
	flat_store_dword v[14:15], v29
.LBB11_133:                             ;   in Loop: Header=BB11_103 Depth=1
	s_or_b64 exec, exec, s[10:11]
	v_cmp_gt_i32_e32 vcc, 0, v16
	s_waitcnt vmcnt(0) lgkmcnt(0)
	v_cndmask_b32_e64 v14, v48, 0, vcc
	v_xor_b32_e32 v14, v14, v16
	v_and_b32_e32 v15, v14, v34
	v_cmp_ge_u32_e32 vcc, v15, v33
	s_mov_b64 s[12:13], 0
                                        ; implicit-def: $vgpr14
	s_and_saveexec_b64 s[10:11], vcc
	s_xor_b64 s[10:11], exec, s[10:11]
	s_cbranch_execnz .LBB11_208
; %bb.134:                              ;   in Loop: Header=BB11_103 Depth=1
	s_andn2_saveexec_b64 s[10:11], s[10:11]
	s_cbranch_execnz .LBB11_213
.LBB11_135:                             ;   in Loop: Header=BB11_103 Depth=1
	s_or_b64 exec, exec, s[10:11]
	s_and_saveexec_b64 s[10:11], s[12:13]
	s_cbranch_execz .LBB11_137
.LBB11_136:                             ;   in Loop: Header=BB11_103 Depth=1
	s_waitcnt vmcnt(0) lgkmcnt(0)
	v_ashrrev_i32_e32 v15, 31, v14
	v_lshlrev_b64 v[14:15], 2, v[14:15]
	v_add_co_u32_e32 v14, vcc, v4, v14
	v_add_u32_e32 v16, 2, v27
	v_addc_co_u32_e32 v15, vcc, v5, v15, vcc
	flat_store_dword v[14:15], v16
.LBB11_137:                             ;   in Loop: Header=BB11_103 Depth=1
	s_or_b64 exec, exec, s[10:11]
	v_cmp_gt_i32_e32 vcc, 0, v17
	s_waitcnt vmcnt(0) lgkmcnt(0)
	v_cndmask_b32_e64 v14, v48, 0, vcc
	v_xor_b32_e32 v14, v14, v17
	v_and_b32_e32 v15, v14, v34
	v_cmp_ge_u32_e32 vcc, v15, v33
	s_mov_b64 s[12:13], 0
                                        ; implicit-def: $vgpr14
	s_and_saveexec_b64 s[10:11], vcc
	s_xor_b64 s[10:11], exec, s[10:11]
	s_cbranch_execnz .LBB11_214
; %bb.138:                              ;   in Loop: Header=BB11_103 Depth=1
	s_andn2_saveexec_b64 s[10:11], s[10:11]
	s_cbranch_execnz .LBB11_219
.LBB11_139:                             ;   in Loop: Header=BB11_103 Depth=1
	s_or_b64 exec, exec, s[10:11]
	s_and_saveexec_b64 s[10:11], s[12:13]
	s_cbranch_execz .LBB11_141
.LBB11_140:                             ;   in Loop: Header=BB11_103 Depth=1
	s_waitcnt vmcnt(0) lgkmcnt(0)
	v_ashrrev_i32_e32 v15, 31, v14
	v_lshlrev_b64 v[14:15], 2, v[14:15]
	v_add_co_u32_e32 v14, vcc, v4, v14
	v_add_u32_e32 v16, 3, v27
	v_addc_co_u32_e32 v15, vcc, v5, v15, vcc
	flat_store_dword v[14:15], v16
.LBB11_141:                             ;   in Loop: Header=BB11_103 Depth=1
	s_or_b64 exec, exec, s[10:11]
	v_cmp_gt_i32_e32 vcc, 0, v18
	s_waitcnt vmcnt(0) lgkmcnt(0)
	v_cndmask_b32_e64 v14, v48, 0, vcc
	v_xor_b32_e32 v14, v14, v18
	v_and_b32_e32 v15, v14, v34
	v_cmp_ge_u32_e32 vcc, v15, v33
	s_mov_b64 s[12:13], 0
                                        ; implicit-def: $vgpr14
	s_and_saveexec_b64 s[10:11], vcc
	s_xor_b64 s[10:11], exec, s[10:11]
	s_cbranch_execz .LBB11_147
; %bb.142:                              ;   in Loop: Header=BB11_103 Depth=1
	v_cmp_eq_u32_e32 vcc, v15, v33
	s_mov_b64 s[14:15], 0
                                        ; implicit-def: $vgpr14
	s_and_saveexec_b64 s[12:13], vcc
	s_cbranch_execz .LBB11_146
; %bb.143:                              ;   in Loop: Header=BB11_103 Depth=1
	flat_atomic_add v15, v[8:9], v49 offset:512 glc
                                        ; implicit-def: $vgpr14
	s_waitcnt vmcnt(0) lgkmcnt(0)
	v_cmp_lt_i32_e32 vcc, v15, v32
	s_and_saveexec_b64 s[16:17], vcc
	s_xor_b64 s[16:17], exec, s[16:17]
; %bb.144:                              ;   in Loop: Header=BB11_103 Depth=1
	s_mov_b64 s[14:15], exec
	v_xad_u32 v14, v15, -1, v7
; %bb.145:                              ;   in Loop: Header=BB11_103 Depth=1
	s_or_b64 exec, exec, s[16:17]
	s_and_b64 s[14:15], s[14:15], exec
.LBB11_146:                             ;   in Loop: Header=BB11_103 Depth=1
	s_or_b64 exec, exec, s[12:13]
	s_and_b64 s[12:13], s[14:15], exec
.LBB11_147:                             ;   in Loop: Header=BB11_103 Depth=1
	s_andn2_saveexec_b64 s[10:11], s[10:11]
	s_cbranch_execz .LBB11_149
; %bb.148:                              ;   in Loop: Header=BB11_103 Depth=1
	flat_atomic_add v14, v[8:9], v49 offset:384 glc
	s_or_b64 s[12:13], s[12:13], exec
.LBB11_149:                             ;   in Loop: Header=BB11_103 Depth=1
	s_or_b64 exec, exec, s[10:11]
	v_add_u32_e32 v3, v3, v36
	v_lshl_add_u32 v3, v3, 2, v22
	s_and_saveexec_b64 s[10:11], s[12:13]
	s_cbranch_execz .LBB11_151
; %bb.150:                              ;   in Loop: Header=BB11_103 Depth=1
	s_waitcnt vmcnt(0) lgkmcnt(0)
	v_ashrrev_i32_e32 v15, 31, v14
	v_lshlrev_b64 v[14:15], 2, v[14:15]
	v_add_co_u32_e32 v14, vcc, v4, v14
	v_addc_co_u32_e32 v15, vcc, v5, v15, vcc
	flat_store_dword v[14:15], v3
.LBB11_151:                             ;   in Loop: Header=BB11_103 Depth=1
	s_or_b64 exec, exec, s[10:11]
	v_cmp_gt_i32_e32 vcc, 0, v19
	s_waitcnt vmcnt(0) lgkmcnt(0)
	v_cndmask_b32_e64 v14, v48, 0, vcc
	v_xor_b32_e32 v14, v14, v19
	v_and_b32_e32 v15, v14, v34
	v_cmp_ge_u32_e32 vcc, v15, v33
	s_mov_b64 s[12:13], 0
                                        ; implicit-def: $vgpr14
	s_and_saveexec_b64 s[10:11], vcc
	s_xor_b64 s[10:11], exec, s[10:11]
	s_cbranch_execnz .LBB11_220
; %bb.152:                              ;   in Loop: Header=BB11_103 Depth=1
	s_andn2_saveexec_b64 s[10:11], s[10:11]
	s_cbranch_execnz .LBB11_225
.LBB11_153:                             ;   in Loop: Header=BB11_103 Depth=1
	s_or_b64 exec, exec, s[10:11]
	s_and_saveexec_b64 s[10:11], s[12:13]
	s_cbranch_execz .LBB11_155
.LBB11_154:                             ;   in Loop: Header=BB11_103 Depth=1
	s_waitcnt vmcnt(0) lgkmcnt(0)
	v_ashrrev_i32_e32 v15, 31, v14
	v_lshlrev_b64 v[14:15], 2, v[14:15]
	v_add_co_u32_e32 v14, vcc, v4, v14
	v_add_u32_e32 v16, 1, v3
	v_addc_co_u32_e32 v15, vcc, v5, v15, vcc
	flat_store_dword v[14:15], v16
.LBB11_155:                             ;   in Loop: Header=BB11_103 Depth=1
	s_or_b64 exec, exec, s[10:11]
	v_cmp_gt_i32_e32 vcc, 0, v20
	s_waitcnt vmcnt(0) lgkmcnt(0)
	v_cndmask_b32_e64 v14, v48, 0, vcc
	v_xor_b32_e32 v14, v14, v20
	v_and_b32_e32 v15, v14, v34
	v_cmp_ge_u32_e32 vcc, v15, v33
	s_mov_b64 s[12:13], 0
                                        ; implicit-def: $vgpr14
	s_and_saveexec_b64 s[10:11], vcc
	s_xor_b64 s[10:11], exec, s[10:11]
	s_cbranch_execnz .LBB11_226
; %bb.156:                              ;   in Loop: Header=BB11_103 Depth=1
	s_andn2_saveexec_b64 s[10:11], s[10:11]
	s_cbranch_execnz .LBB11_231
.LBB11_157:                             ;   in Loop: Header=BB11_103 Depth=1
	s_or_b64 exec, exec, s[10:11]
	s_and_saveexec_b64 s[10:11], s[12:13]
	s_cbranch_execz .LBB11_159
.LBB11_158:                             ;   in Loop: Header=BB11_103 Depth=1
	s_waitcnt vmcnt(0) lgkmcnt(0)
	v_ashrrev_i32_e32 v15, 31, v14
	v_lshlrev_b64 v[14:15], 2, v[14:15]
	v_add_co_u32_e32 v14, vcc, v4, v14
	v_add_u32_e32 v16, 2, v3
	v_addc_co_u32_e32 v15, vcc, v5, v15, vcc
	flat_store_dword v[14:15], v16
.LBB11_159:                             ;   in Loop: Header=BB11_103 Depth=1
	s_or_b64 exec, exec, s[10:11]
	v_cmp_gt_i32_e32 vcc, 0, v21
	s_waitcnt vmcnt(0) lgkmcnt(0)
	v_cndmask_b32_e64 v14, v48, 0, vcc
	v_xor_b32_e32 v14, v14, v21
	v_and_b32_e32 v15, v14, v34
	v_cmp_ge_u32_e32 vcc, v15, v33
	s_mov_b64 s[12:13], 0
                                        ; implicit-def: $vgpr14
	s_and_saveexec_b64 s[10:11], vcc
	s_xor_b64 s[10:11], exec, s[10:11]
	s_cbranch_execnz .LBB11_232
; %bb.160:                              ;   in Loop: Header=BB11_103 Depth=1
	s_andn2_saveexec_b64 s[10:11], s[10:11]
	s_cbranch_execnz .LBB11_237
.LBB11_161:                             ;   in Loop: Header=BB11_103 Depth=1
	s_or_b64 exec, exec, s[10:11]
	s_and_saveexec_b64 s[10:11], s[12:13]
	s_cbranch_execz .LBB11_163
.LBB11_162:                             ;   in Loop: Header=BB11_103 Depth=1
	s_waitcnt vmcnt(0) lgkmcnt(0)
	v_ashrrev_i32_e32 v15, 31, v14
	v_lshlrev_b64 v[14:15], 2, v[14:15]
	v_add_co_u32_e32 v14, vcc, v4, v14
	v_add_u32_e32 v3, 3, v3
	v_addc_co_u32_e32 v15, vcc, v5, v15, vcc
	flat_store_dword v[14:15], v3
.LBB11_163:                             ;   in Loop: Header=BB11_103 Depth=1
	s_or_b64 exec, exec, s[10:11]
	v_cmp_gt_i32_e32 vcc, 0, v10
	v_cndmask_b32_e64 v3, v48, 0, vcc
	v_xor_b32_e32 v3, v3, v10
	v_and_b32_e32 v3, v3, v34
	v_cmp_ge_u32_e32 vcc, v3, v33
	s_mov_b64 s[12:13], 0
                                        ; implicit-def: $vgpr14
	s_and_saveexec_b64 s[10:11], vcc
	s_xor_b64 s[10:11], exec, s[10:11]
	s_cbranch_execnz .LBB11_238
; %bb.164:                              ;   in Loop: Header=BB11_103 Depth=1
	s_andn2_saveexec_b64 s[10:11], s[10:11]
	s_cbranch_execnz .LBB11_243
.LBB11_165:                             ;   in Loop: Header=BB11_103 Depth=1
	s_or_b64 exec, exec, s[10:11]
	v_lshl_add_u32 v3, v28, 2, v22
	s_and_saveexec_b64 s[10:11], s[12:13]
	s_cbranch_execz .LBB11_167
.LBB11_166:                             ;   in Loop: Header=BB11_103 Depth=1
	s_waitcnt vmcnt(0) lgkmcnt(0)
	v_ashrrev_i32_e32 v15, 31, v14
	v_lshlrev_b64 v[14:15], 2, v[14:15]
	v_add_co_u32_e32 v14, vcc, v4, v14
	v_addc_co_u32_e32 v15, vcc, v5, v15, vcc
	flat_store_dword v[14:15], v3
.LBB11_167:                             ;   in Loop: Header=BB11_103 Depth=1
	s_or_b64 exec, exec, s[10:11]
	v_cmp_gt_i32_e32 vcc, 0, v11
	v_cndmask_b32_e64 v10, v48, 0, vcc
	v_xor_b32_e32 v10, v10, v11
	v_and_b32_e32 v11, v10, v34
	v_cmp_ge_u32_e32 vcc, v11, v33
	s_mov_b64 s[12:13], 0
                                        ; implicit-def: $vgpr10
	s_and_saveexec_b64 s[10:11], vcc
	s_xor_b64 s[10:11], exec, s[10:11]
	s_cbranch_execnz .LBB11_244
; %bb.168:                              ;   in Loop: Header=BB11_103 Depth=1
	s_andn2_saveexec_b64 s[10:11], s[10:11]
	s_cbranch_execnz .LBB11_249
.LBB11_169:                             ;   in Loop: Header=BB11_103 Depth=1
	s_or_b64 exec, exec, s[10:11]
	s_and_saveexec_b64 s[10:11], s[12:13]
	s_cbranch_execz .LBB11_171
.LBB11_170:                             ;   in Loop: Header=BB11_103 Depth=1
	s_waitcnt vmcnt(0) lgkmcnt(0)
	v_ashrrev_i32_e32 v11, 31, v10
	v_lshlrev_b64 v[10:11], 2, v[10:11]
	v_add_co_u32_e32 v10, vcc, v4, v10
	v_add_u32_e32 v14, 1, v3
	v_addc_co_u32_e32 v11, vcc, v5, v11, vcc
	flat_store_dword v[10:11], v14
.LBB11_171:                             ;   in Loop: Header=BB11_103 Depth=1
	s_or_b64 exec, exec, s[10:11]
	v_cmp_gt_i32_e32 vcc, 0, v12
	s_waitcnt vmcnt(0) lgkmcnt(0)
	v_cndmask_b32_e64 v10, v48, 0, vcc
	v_xor_b32_e32 v10, v10, v12
	v_and_b32_e32 v11, v10, v34
	v_cmp_ge_u32_e32 vcc, v11, v33
	s_mov_b64 s[12:13], 0
                                        ; implicit-def: $vgpr10
	s_and_saveexec_b64 s[10:11], vcc
	s_xor_b64 s[10:11], exec, s[10:11]
	s_cbranch_execnz .LBB11_250
; %bb.172:                              ;   in Loop: Header=BB11_103 Depth=1
	s_andn2_saveexec_b64 s[10:11], s[10:11]
	s_cbranch_execnz .LBB11_255
.LBB11_173:                             ;   in Loop: Header=BB11_103 Depth=1
	s_or_b64 exec, exec, s[10:11]
	s_and_saveexec_b64 s[10:11], s[12:13]
	s_cbranch_execz .LBB11_175
.LBB11_174:                             ;   in Loop: Header=BB11_103 Depth=1
	s_waitcnt vmcnt(0) lgkmcnt(0)
	v_ashrrev_i32_e32 v11, 31, v10
	v_lshlrev_b64 v[10:11], 2, v[10:11]
	v_add_co_u32_e32 v10, vcc, v4, v10
	v_add_u32_e32 v12, 2, v3
	v_addc_co_u32_e32 v11, vcc, v5, v11, vcc
	flat_store_dword v[10:11], v12
.LBB11_175:                             ;   in Loop: Header=BB11_103 Depth=1
	s_or_b64 exec, exec, s[10:11]
	v_cmp_gt_i32_e32 vcc, 0, v13
	s_waitcnt vmcnt(0) lgkmcnt(0)
	v_cndmask_b32_e64 v10, v48, 0, vcc
	v_xor_b32_e32 v10, v10, v13
	v_and_b32_e32 v11, v10, v34
	v_cmp_ge_u32_e32 vcc, v11, v33
	s_mov_b64 s[12:13], 0
                                        ; implicit-def: $vgpr10
	s_and_saveexec_b64 s[10:11], vcc
	s_xor_b64 s[10:11], exec, s[10:11]
	s_cbranch_execnz .LBB11_256
; %bb.176:                              ;   in Loop: Header=BB11_103 Depth=1
	s_andn2_saveexec_b64 s[10:11], s[10:11]
	s_cbranch_execnz .LBB11_261
.LBB11_177:                             ;   in Loop: Header=BB11_103 Depth=1
	s_or_b64 exec, exec, s[10:11]
	s_and_saveexec_b64 s[10:11], s[12:13]
	s_cbranch_execz .LBB11_102
	s_branch .LBB11_262
.LBB11_178:                             ;   in Loop: Header=BB11_103 Depth=1
	v_cmp_eq_u32_e32 vcc, v3, v33
	s_mov_b64 s[14:15], 0
                                        ; implicit-def: $vgpr20
	s_and_saveexec_b64 s[12:13], vcc
	s_cbranch_execz .LBB11_182
; %bb.179:                              ;   in Loop: Header=BB11_103 Depth=1
	flat_atomic_add v3, v[8:9], v49 offset:512 glc
                                        ; implicit-def: $vgpr20
	s_waitcnt vmcnt(0) lgkmcnt(0)
	v_cmp_lt_i32_e32 vcc, v3, v32
	s_and_saveexec_b64 s[16:17], vcc
	s_xor_b64 s[16:17], exec, s[16:17]
; %bb.180:                              ;   in Loop: Header=BB11_103 Depth=1
	s_mov_b64 s[14:15], exec
	v_xad_u32 v20, v3, -1, v7
; %bb.181:                              ;   in Loop: Header=BB11_103 Depth=1
	s_or_b64 exec, exec, s[16:17]
	s_and_b64 s[14:15], s[14:15], exec
.LBB11_182:                             ;   in Loop: Header=BB11_103 Depth=1
	s_or_b64 exec, exec, s[12:13]
	s_and_b64 s[12:13], s[14:15], exec
	s_andn2_saveexec_b64 s[10:11], s[10:11]
	s_cbranch_execz .LBB11_105
.LBB11_183:                             ;   in Loop: Header=BB11_103 Depth=1
	flat_atomic_add v20, v[8:9], v49 offset:384 glc
	s_or_b64 s[12:13], s[12:13], exec
	s_or_b64 exec, exec, s[10:11]
	v_lshl_add_u32 v3, v26, 2, v22
	s_and_saveexec_b64 s[10:11], s[12:13]
	s_cbranch_execnz .LBB11_106
	s_branch .LBB11_107
.LBB11_184:                             ;   in Loop: Header=BB11_103 Depth=1
	v_cmp_eq_u32_e32 vcc, v11, v33
	s_mov_b64 s[14:15], 0
                                        ; implicit-def: $vgpr10
	s_and_saveexec_b64 s[12:13], vcc
	s_cbranch_execz .LBB11_188
; %bb.185:                              ;   in Loop: Header=BB11_103 Depth=1
	flat_atomic_add v11, v[8:9], v49 offset:512 glc
                                        ; implicit-def: $vgpr10
	s_waitcnt vmcnt(0) lgkmcnt(0)
	v_cmp_lt_i32_e32 vcc, v11, v32
	s_and_saveexec_b64 s[16:17], vcc
; %bb.186:                              ;   in Loop: Header=BB11_103 Depth=1
	s_mov_b64 s[14:15], exec
	v_xad_u32 v10, v11, -1, v7
; %bb.187:                              ;   in Loop: Header=BB11_103 Depth=1
	s_or_b64 exec, exec, s[16:17]
	s_and_b64 s[14:15], s[14:15], exec
.LBB11_188:                             ;   in Loop: Header=BB11_103 Depth=1
	s_or_b64 exec, exec, s[12:13]
	s_and_b64 s[12:13], s[14:15], exec
	s_andn2_saveexec_b64 s[10:11], s[10:11]
	s_cbranch_execz .LBB11_109
.LBB11_189:                             ;   in Loop: Header=BB11_103 Depth=1
	flat_atomic_add v10, v[8:9], v49 offset:384 glc
	s_or_b64 s[12:13], s[12:13], exec
	s_or_b64 exec, exec, s[10:11]
	s_and_saveexec_b64 s[10:11], s[12:13]
	s_cbranch_execnz .LBB11_110
	s_branch .LBB11_111
.LBB11_190:                             ;   in Loop: Header=BB11_103 Depth=1
	v_cmp_eq_u32_e32 vcc, v11, v33
	s_mov_b64 s[14:15], 0
                                        ; implicit-def: $vgpr10
	s_and_saveexec_b64 s[12:13], vcc
	s_cbranch_execz .LBB11_194
; %bb.191:                              ;   in Loop: Header=BB11_103 Depth=1
	flat_atomic_add v11, v[8:9], v49 offset:512 glc
                                        ; implicit-def: $vgpr10
	s_waitcnt vmcnt(0) lgkmcnt(0)
	v_cmp_lt_i32_e32 vcc, v11, v32
	s_and_saveexec_b64 s[16:17], vcc
; %bb.192:                              ;   in Loop: Header=BB11_103 Depth=1
	s_mov_b64 s[14:15], exec
	v_xad_u32 v10, v11, -1, v7
; %bb.193:                              ;   in Loop: Header=BB11_103 Depth=1
	s_or_b64 exec, exec, s[16:17]
	s_and_b64 s[14:15], s[14:15], exec
.LBB11_194:                             ;   in Loop: Header=BB11_103 Depth=1
	s_or_b64 exec, exec, s[12:13]
	s_and_b64 s[12:13], s[14:15], exec
	s_andn2_saveexec_b64 s[10:11], s[10:11]
	s_cbranch_execz .LBB11_113
.LBB11_195:                             ;   in Loop: Header=BB11_103 Depth=1
	flat_atomic_add v10, v[8:9], v49 offset:384 glc
	s_or_b64 s[12:13], s[12:13], exec
	s_or_b64 exec, exec, s[10:11]
	s_and_saveexec_b64 s[10:11], s[12:13]
	s_cbranch_execnz .LBB11_114
	s_branch .LBB11_115
.LBB11_196:                             ;   in Loop: Header=BB11_103 Depth=1
	v_cmp_eq_u32_e32 vcc, v11, v33
	s_mov_b64 s[14:15], 0
                                        ; implicit-def: $vgpr10
	s_and_saveexec_b64 s[12:13], vcc
	s_cbranch_execz .LBB11_200
; %bb.197:                              ;   in Loop: Header=BB11_103 Depth=1
	flat_atomic_add v11, v[8:9], v49 offset:512 glc
                                        ; implicit-def: $vgpr10
	s_waitcnt vmcnt(0) lgkmcnt(0)
	v_cmp_lt_i32_e32 vcc, v11, v32
	s_and_saveexec_b64 s[16:17], vcc
; %bb.198:                              ;   in Loop: Header=BB11_103 Depth=1
	s_mov_b64 s[14:15], exec
	v_xad_u32 v10, v11, -1, v7
; %bb.199:                              ;   in Loop: Header=BB11_103 Depth=1
	s_or_b64 exec, exec, s[16:17]
	s_and_b64 s[14:15], s[14:15], exec
.LBB11_200:                             ;   in Loop: Header=BB11_103 Depth=1
	s_or_b64 exec, exec, s[12:13]
	s_and_b64 s[12:13], s[14:15], exec
	s_andn2_saveexec_b64 s[10:11], s[10:11]
	s_cbranch_execz .LBB11_117
.LBB11_201:                             ;   in Loop: Header=BB11_103 Depth=1
	flat_atomic_add v10, v[8:9], v49 offset:384 glc
	s_or_b64 s[12:13], s[12:13], exec
	s_or_b64 exec, exec, s[10:11]
	s_and_saveexec_b64 s[10:11], s[12:13]
	s_cbranch_execnz .LBB11_118
	s_branch .LBB11_119
.LBB11_202:                             ;   in Loop: Header=BB11_103 Depth=1
	v_cmp_eq_u32_e32 vcc, v15, v33
	s_mov_b64 s[14:15], 0
                                        ; implicit-def: $vgpr14
	s_and_saveexec_b64 s[12:13], vcc
	s_cbranch_execz .LBB11_206
; %bb.203:                              ;   in Loop: Header=BB11_103 Depth=1
	flat_atomic_add v15, v[8:9], v49 offset:512 glc
                                        ; implicit-def: $vgpr14
	s_waitcnt vmcnt(0) lgkmcnt(0)
	v_cmp_lt_i32_e32 vcc, v15, v32
	s_and_saveexec_b64 s[16:17], vcc
; %bb.204:                              ;   in Loop: Header=BB11_103 Depth=1
	s_mov_b64 s[14:15], exec
	v_xad_u32 v14, v15, -1, v7
; %bb.205:                              ;   in Loop: Header=BB11_103 Depth=1
	s_or_b64 exec, exec, s[16:17]
	s_and_b64 s[14:15], s[14:15], exec
.LBB11_206:                             ;   in Loop: Header=BB11_103 Depth=1
	s_or_b64 exec, exec, s[12:13]
	s_and_b64 s[12:13], s[14:15], exec
	s_andn2_saveexec_b64 s[10:11], s[10:11]
	s_cbranch_execz .LBB11_131
.LBB11_207:                             ;   in Loop: Header=BB11_103 Depth=1
	flat_atomic_add v14, v[8:9], v49 offset:384 glc
	s_or_b64 s[12:13], s[12:13], exec
	s_or_b64 exec, exec, s[10:11]
	s_and_saveexec_b64 s[10:11], s[12:13]
	s_cbranch_execnz .LBB11_132
	s_branch .LBB11_133
.LBB11_208:                             ;   in Loop: Header=BB11_103 Depth=1
	v_cmp_eq_u32_e32 vcc, v15, v33
	s_mov_b64 s[14:15], 0
                                        ; implicit-def: $vgpr14
	s_and_saveexec_b64 s[12:13], vcc
	s_cbranch_execz .LBB11_212
; %bb.209:                              ;   in Loop: Header=BB11_103 Depth=1
	flat_atomic_add v15, v[8:9], v49 offset:512 glc
                                        ; implicit-def: $vgpr14
	s_waitcnt vmcnt(0) lgkmcnt(0)
	v_cmp_lt_i32_e32 vcc, v15, v32
	s_and_saveexec_b64 s[16:17], vcc
; %bb.210:                              ;   in Loop: Header=BB11_103 Depth=1
	s_mov_b64 s[14:15], exec
	v_xad_u32 v14, v15, -1, v7
; %bb.211:                              ;   in Loop: Header=BB11_103 Depth=1
	s_or_b64 exec, exec, s[16:17]
	s_and_b64 s[14:15], s[14:15], exec
.LBB11_212:                             ;   in Loop: Header=BB11_103 Depth=1
	s_or_b64 exec, exec, s[12:13]
	s_and_b64 s[12:13], s[14:15], exec
	s_andn2_saveexec_b64 s[10:11], s[10:11]
	s_cbranch_execz .LBB11_135
.LBB11_213:                             ;   in Loop: Header=BB11_103 Depth=1
	flat_atomic_add v14, v[8:9], v49 offset:384 glc
	s_or_b64 s[12:13], s[12:13], exec
	s_or_b64 exec, exec, s[10:11]
	s_and_saveexec_b64 s[10:11], s[12:13]
	s_cbranch_execnz .LBB11_136
	s_branch .LBB11_137
.LBB11_214:                             ;   in Loop: Header=BB11_103 Depth=1
	v_cmp_eq_u32_e32 vcc, v15, v33
	s_mov_b64 s[14:15], 0
                                        ; implicit-def: $vgpr14
	s_and_saveexec_b64 s[12:13], vcc
	s_cbranch_execz .LBB11_218
; %bb.215:                              ;   in Loop: Header=BB11_103 Depth=1
	flat_atomic_add v15, v[8:9], v49 offset:512 glc
                                        ; implicit-def: $vgpr14
	s_waitcnt vmcnt(0) lgkmcnt(0)
	v_cmp_lt_i32_e32 vcc, v15, v32
	s_and_saveexec_b64 s[16:17], vcc
; %bb.216:                              ;   in Loop: Header=BB11_103 Depth=1
	s_mov_b64 s[14:15], exec
	v_xad_u32 v14, v15, -1, v7
; %bb.217:                              ;   in Loop: Header=BB11_103 Depth=1
	s_or_b64 exec, exec, s[16:17]
	s_and_b64 s[14:15], s[14:15], exec
.LBB11_218:                             ;   in Loop: Header=BB11_103 Depth=1
	s_or_b64 exec, exec, s[12:13]
	s_and_b64 s[12:13], s[14:15], exec
	s_andn2_saveexec_b64 s[10:11], s[10:11]
	s_cbranch_execz .LBB11_139
.LBB11_219:                             ;   in Loop: Header=BB11_103 Depth=1
	flat_atomic_add v14, v[8:9], v49 offset:384 glc
	s_or_b64 s[12:13], s[12:13], exec
	s_or_b64 exec, exec, s[10:11]
	s_and_saveexec_b64 s[10:11], s[12:13]
	s_cbranch_execnz .LBB11_140
	s_branch .LBB11_141
.LBB11_220:                             ;   in Loop: Header=BB11_103 Depth=1
	v_cmp_eq_u32_e32 vcc, v15, v33
	s_mov_b64 s[14:15], 0
                                        ; implicit-def: $vgpr14
	s_and_saveexec_b64 s[12:13], vcc
	s_cbranch_execz .LBB11_224
; %bb.221:                              ;   in Loop: Header=BB11_103 Depth=1
	flat_atomic_add v15, v[8:9], v49 offset:512 glc
                                        ; implicit-def: $vgpr14
	s_waitcnt vmcnt(0) lgkmcnt(0)
	v_cmp_lt_i32_e32 vcc, v15, v32
	s_and_saveexec_b64 s[16:17], vcc
; %bb.222:                              ;   in Loop: Header=BB11_103 Depth=1
	s_mov_b64 s[14:15], exec
	v_xad_u32 v14, v15, -1, v7
; %bb.223:                              ;   in Loop: Header=BB11_103 Depth=1
	s_or_b64 exec, exec, s[16:17]
	s_and_b64 s[14:15], s[14:15], exec
.LBB11_224:                             ;   in Loop: Header=BB11_103 Depth=1
	s_or_b64 exec, exec, s[12:13]
	s_and_b64 s[12:13], s[14:15], exec
	s_andn2_saveexec_b64 s[10:11], s[10:11]
	s_cbranch_execz .LBB11_153
.LBB11_225:                             ;   in Loop: Header=BB11_103 Depth=1
	flat_atomic_add v14, v[8:9], v49 offset:384 glc
	s_or_b64 s[12:13], s[12:13], exec
	s_or_b64 exec, exec, s[10:11]
	s_and_saveexec_b64 s[10:11], s[12:13]
	s_cbranch_execnz .LBB11_154
	s_branch .LBB11_155
.LBB11_226:                             ;   in Loop: Header=BB11_103 Depth=1
	v_cmp_eq_u32_e32 vcc, v15, v33
	s_mov_b64 s[14:15], 0
                                        ; implicit-def: $vgpr14
	s_and_saveexec_b64 s[12:13], vcc
	s_cbranch_execz .LBB11_230
; %bb.227:                              ;   in Loop: Header=BB11_103 Depth=1
	flat_atomic_add v15, v[8:9], v49 offset:512 glc
                                        ; implicit-def: $vgpr14
	s_waitcnt vmcnt(0) lgkmcnt(0)
	v_cmp_lt_i32_e32 vcc, v15, v32
	s_and_saveexec_b64 s[16:17], vcc
; %bb.228:                              ;   in Loop: Header=BB11_103 Depth=1
	s_mov_b64 s[14:15], exec
	v_xad_u32 v14, v15, -1, v7
; %bb.229:                              ;   in Loop: Header=BB11_103 Depth=1
	s_or_b64 exec, exec, s[16:17]
	s_and_b64 s[14:15], s[14:15], exec
.LBB11_230:                             ;   in Loop: Header=BB11_103 Depth=1
	s_or_b64 exec, exec, s[12:13]
	s_and_b64 s[12:13], s[14:15], exec
	s_andn2_saveexec_b64 s[10:11], s[10:11]
	s_cbranch_execz .LBB11_157
.LBB11_231:                             ;   in Loop: Header=BB11_103 Depth=1
	flat_atomic_add v14, v[8:9], v49 offset:384 glc
	s_or_b64 s[12:13], s[12:13], exec
	s_or_b64 exec, exec, s[10:11]
	s_and_saveexec_b64 s[10:11], s[12:13]
	s_cbranch_execnz .LBB11_158
	s_branch .LBB11_159
.LBB11_232:                             ;   in Loop: Header=BB11_103 Depth=1
	v_cmp_eq_u32_e32 vcc, v15, v33
	s_mov_b64 s[14:15], 0
                                        ; implicit-def: $vgpr14
	s_and_saveexec_b64 s[12:13], vcc
	s_cbranch_execz .LBB11_236
; %bb.233:                              ;   in Loop: Header=BB11_103 Depth=1
	flat_atomic_add v15, v[8:9], v49 offset:512 glc
                                        ; implicit-def: $vgpr14
	s_waitcnt vmcnt(0) lgkmcnt(0)
	v_cmp_lt_i32_e32 vcc, v15, v32
	s_and_saveexec_b64 s[16:17], vcc
; %bb.234:                              ;   in Loop: Header=BB11_103 Depth=1
	s_mov_b64 s[14:15], exec
	v_xad_u32 v14, v15, -1, v7
; %bb.235:                              ;   in Loop: Header=BB11_103 Depth=1
	s_or_b64 exec, exec, s[16:17]
	s_and_b64 s[14:15], s[14:15], exec
.LBB11_236:                             ;   in Loop: Header=BB11_103 Depth=1
	s_or_b64 exec, exec, s[12:13]
	s_and_b64 s[12:13], s[14:15], exec
	s_andn2_saveexec_b64 s[10:11], s[10:11]
	s_cbranch_execz .LBB11_161
.LBB11_237:                             ;   in Loop: Header=BB11_103 Depth=1
	flat_atomic_add v14, v[8:9], v49 offset:384 glc
	s_or_b64 s[12:13], s[12:13], exec
	s_or_b64 exec, exec, s[10:11]
	s_and_saveexec_b64 s[10:11], s[12:13]
	s_cbranch_execnz .LBB11_162
	s_branch .LBB11_163
.LBB11_238:                             ;   in Loop: Header=BB11_103 Depth=1
	v_cmp_eq_u32_e32 vcc, v3, v33
	s_mov_b64 s[14:15], 0
                                        ; implicit-def: $vgpr14
	s_and_saveexec_b64 s[12:13], vcc
	s_cbranch_execz .LBB11_242
; %bb.239:                              ;   in Loop: Header=BB11_103 Depth=1
	flat_atomic_add v3, v[8:9], v49 offset:512 glc
                                        ; implicit-def: $vgpr14
	s_waitcnt vmcnt(0) lgkmcnt(0)
	v_cmp_lt_i32_e32 vcc, v3, v32
	s_and_saveexec_b64 s[16:17], vcc
	s_xor_b64 s[16:17], exec, s[16:17]
; %bb.240:                              ;   in Loop: Header=BB11_103 Depth=1
	s_mov_b64 s[14:15], exec
	v_xad_u32 v14, v3, -1, v7
; %bb.241:                              ;   in Loop: Header=BB11_103 Depth=1
	s_or_b64 exec, exec, s[16:17]
	s_and_b64 s[14:15], s[14:15], exec
.LBB11_242:                             ;   in Loop: Header=BB11_103 Depth=1
	s_or_b64 exec, exec, s[12:13]
	s_and_b64 s[12:13], s[14:15], exec
	s_andn2_saveexec_b64 s[10:11], s[10:11]
	s_cbranch_execz .LBB11_165
.LBB11_243:                             ;   in Loop: Header=BB11_103 Depth=1
	s_waitcnt vmcnt(0) lgkmcnt(0)
	flat_atomic_add v14, v[8:9], v49 offset:384 glc
	s_or_b64 s[12:13], s[12:13], exec
	s_or_b64 exec, exec, s[10:11]
	v_lshl_add_u32 v3, v28, 2, v22
	s_and_saveexec_b64 s[10:11], s[12:13]
	s_cbranch_execnz .LBB11_166
	s_branch .LBB11_167
.LBB11_244:                             ;   in Loop: Header=BB11_103 Depth=1
	v_cmp_eq_u32_e32 vcc, v11, v33
	s_mov_b64 s[14:15], 0
                                        ; implicit-def: $vgpr10
	s_and_saveexec_b64 s[12:13], vcc
	s_cbranch_execz .LBB11_248
; %bb.245:                              ;   in Loop: Header=BB11_103 Depth=1
	flat_atomic_add v11, v[8:9], v49 offset:512 glc
                                        ; implicit-def: $vgpr10
	s_waitcnt vmcnt(0) lgkmcnt(0)
	v_cmp_lt_i32_e32 vcc, v11, v32
	s_and_saveexec_b64 s[16:17], vcc
; %bb.246:                              ;   in Loop: Header=BB11_103 Depth=1
	s_mov_b64 s[14:15], exec
	v_xad_u32 v10, v11, -1, v7
; %bb.247:                              ;   in Loop: Header=BB11_103 Depth=1
	s_or_b64 exec, exec, s[16:17]
	s_and_b64 s[14:15], s[14:15], exec
.LBB11_248:                             ;   in Loop: Header=BB11_103 Depth=1
	s_or_b64 exec, exec, s[12:13]
	s_and_b64 s[12:13], s[14:15], exec
	s_andn2_saveexec_b64 s[10:11], s[10:11]
	s_cbranch_execz .LBB11_169
.LBB11_249:                             ;   in Loop: Header=BB11_103 Depth=1
	flat_atomic_add v10, v[8:9], v49 offset:384 glc
	s_or_b64 s[12:13], s[12:13], exec
	s_or_b64 exec, exec, s[10:11]
	s_and_saveexec_b64 s[10:11], s[12:13]
	s_cbranch_execnz .LBB11_170
	s_branch .LBB11_171
.LBB11_250:                             ;   in Loop: Header=BB11_103 Depth=1
	v_cmp_eq_u32_e32 vcc, v11, v33
	s_mov_b64 s[14:15], 0
                                        ; implicit-def: $vgpr10
	s_and_saveexec_b64 s[12:13], vcc
	s_cbranch_execz .LBB11_254
; %bb.251:                              ;   in Loop: Header=BB11_103 Depth=1
	flat_atomic_add v11, v[8:9], v49 offset:512 glc
                                        ; implicit-def: $vgpr10
	s_waitcnt vmcnt(0) lgkmcnt(0)
	v_cmp_lt_i32_e32 vcc, v11, v32
	s_and_saveexec_b64 s[16:17], vcc
; %bb.252:                              ;   in Loop: Header=BB11_103 Depth=1
	s_mov_b64 s[14:15], exec
	v_xad_u32 v10, v11, -1, v7
; %bb.253:                              ;   in Loop: Header=BB11_103 Depth=1
	s_or_b64 exec, exec, s[16:17]
	s_and_b64 s[14:15], s[14:15], exec
.LBB11_254:                             ;   in Loop: Header=BB11_103 Depth=1
	s_or_b64 exec, exec, s[12:13]
	s_and_b64 s[12:13], s[14:15], exec
	s_andn2_saveexec_b64 s[10:11], s[10:11]
	s_cbranch_execz .LBB11_173
.LBB11_255:                             ;   in Loop: Header=BB11_103 Depth=1
	flat_atomic_add v10, v[8:9], v49 offset:384 glc
	s_or_b64 s[12:13], s[12:13], exec
	s_or_b64 exec, exec, s[10:11]
	s_and_saveexec_b64 s[10:11], s[12:13]
	s_cbranch_execnz .LBB11_174
	s_branch .LBB11_175
.LBB11_256:                             ;   in Loop: Header=BB11_103 Depth=1
	v_cmp_eq_u32_e32 vcc, v11, v33
	s_mov_b64 s[14:15], 0
                                        ; implicit-def: $vgpr10
	s_and_saveexec_b64 s[12:13], vcc
	s_cbranch_execz .LBB11_260
; %bb.257:                              ;   in Loop: Header=BB11_103 Depth=1
	flat_atomic_add v11, v[8:9], v49 offset:512 glc
                                        ; implicit-def: $vgpr10
	s_waitcnt vmcnt(0) lgkmcnt(0)
	v_cmp_lt_i32_e32 vcc, v11, v32
	s_and_saveexec_b64 s[16:17], vcc
; %bb.258:                              ;   in Loop: Header=BB11_103 Depth=1
	s_mov_b64 s[14:15], exec
	v_xad_u32 v10, v11, -1, v7
; %bb.259:                              ;   in Loop: Header=BB11_103 Depth=1
	s_or_b64 exec, exec, s[16:17]
	s_and_b64 s[14:15], s[14:15], exec
.LBB11_260:                             ;   in Loop: Header=BB11_103 Depth=1
	s_or_b64 exec, exec, s[12:13]
	s_and_b64 s[12:13], s[14:15], exec
	s_andn2_saveexec_b64 s[10:11], s[10:11]
	s_cbranch_execz .LBB11_177
.LBB11_261:                             ;   in Loop: Header=BB11_103 Depth=1
	flat_atomic_add v10, v[8:9], v49 offset:384 glc
	s_or_b64 s[12:13], s[12:13], exec
	s_or_b64 exec, exec, s[10:11]
	s_and_saveexec_b64 s[10:11], s[12:13]
	s_cbranch_execz .LBB11_102
.LBB11_262:                             ;   in Loop: Header=BB11_103 Depth=1
	s_waitcnt vmcnt(0) lgkmcnt(0)
	v_ashrrev_i32_e32 v11, 31, v10
	v_lshlrev_b64 v[10:11], 2, v[10:11]
	v_add_co_u32_e32 v10, vcc, v4, v10
	v_add_u32_e32 v3, 3, v3
	v_addc_co_u32_e32 v11, vcc, v5, v11, vcc
	flat_store_dword v[10:11], v3
	s_branch .LBB11_102
.LBB11_263:
	s_or_b64 exec, exec, s[6:7]
.LBB11_264:
	s_or_b64 exec, exec, s[8:9]
	v_cmp_lt_i32_e32 vcc, v26, v24
	s_and_saveexec_b64 s[6:7], vcc
	s_cbranch_execz .LBB11_307
; %bb.265:
	v_lshl_add_u32 v3, v26, 2, v22
	s_mov_b64 s[8:9], 0
	v_bfrev_b32_e32 v16, -2
	v_mov_b32_e32 v17, 1
	s_branch .LBB11_267
.LBB11_266:                             ;   in Loop: Header=BB11_267 Depth=1
	s_or_b64 exec, exec, s[10:11]
	v_add_u32_e32 v26, v26, v36
	v_cmp_ge_i32_e32 vcc, v26, v24
	s_or_b64 s[8:9], vcc, s[8:9]
	v_add_u32_e32 v3, v3, v37
	s_andn2_b64 exec, exec, s[8:9]
	s_cbranch_execz .LBB11_307
.LBB11_267:                             ; =>This Inner Loop Header: Depth=1
	v_ashrrev_i32_e32 v27, 31, v26
	s_waitcnt vmcnt(0) lgkmcnt(0)
	v_lshlrev_b64 v[10:11], 4, v[26:27]
	v_add_co_u32_e32 v10, vcc, v23, v10
	v_addc_co_u32_e32 v11, vcc, v35, v11, vcc
	flat_load_dwordx4 v[10:13], v[10:11]
	s_mov_b64 s[12:13], 0
	s_waitcnt vmcnt(0) lgkmcnt(0)
	v_cmp_gt_i32_e32 vcc, 0, v10
	v_cndmask_b32_e64 v14, v16, 0, vcc
	v_xor_b32_e32 v10, v14, v10
	v_and_b32_e32 v10, v10, v34
	v_cmp_ge_u32_e32 vcc, v10, v33
                                        ; implicit-def: $vgpr14
	s_and_saveexec_b64 s[10:11], vcc
	s_xor_b64 s[10:11], exec, s[10:11]
	s_cbranch_execnz .LBB11_282
; %bb.268:                              ;   in Loop: Header=BB11_267 Depth=1
	s_andn2_saveexec_b64 s[10:11], s[10:11]
	s_cbranch_execnz .LBB11_287
.LBB11_269:                             ;   in Loop: Header=BB11_267 Depth=1
	s_or_b64 exec, exec, s[10:11]
	s_and_saveexec_b64 s[10:11], s[12:13]
	s_cbranch_execz .LBB11_271
.LBB11_270:                             ;   in Loop: Header=BB11_267 Depth=1
	s_waitcnt vmcnt(0) lgkmcnt(0)
	v_ashrrev_i32_e32 v15, 31, v14
	v_lshlrev_b64 v[14:15], 2, v[14:15]
	v_add_co_u32_e32 v14, vcc, v4, v14
	v_addc_co_u32_e32 v15, vcc, v5, v15, vcc
	flat_store_dword v[14:15], v3
.LBB11_271:                             ;   in Loop: Header=BB11_267 Depth=1
	s_or_b64 exec, exec, s[10:11]
	v_cmp_gt_i32_e32 vcc, 0, v11
	v_cndmask_b32_e64 v10, v16, 0, vcc
	v_xor_b32_e32 v10, v10, v11
	v_and_b32_e32 v11, v10, v34
	v_cmp_ge_u32_e32 vcc, v11, v33
	s_mov_b64 s[12:13], 0
                                        ; implicit-def: $vgpr10
	s_and_saveexec_b64 s[10:11], vcc
	s_xor_b64 s[10:11], exec, s[10:11]
	s_cbranch_execnz .LBB11_288
; %bb.272:                              ;   in Loop: Header=BB11_267 Depth=1
	s_andn2_saveexec_b64 s[10:11], s[10:11]
	s_cbranch_execnz .LBB11_293
.LBB11_273:                             ;   in Loop: Header=BB11_267 Depth=1
	s_or_b64 exec, exec, s[10:11]
	s_and_saveexec_b64 s[10:11], s[12:13]
	s_cbranch_execz .LBB11_275
.LBB11_274:                             ;   in Loop: Header=BB11_267 Depth=1
	s_waitcnt vmcnt(0) lgkmcnt(0)
	v_ashrrev_i32_e32 v11, 31, v10
	v_lshlrev_b64 v[10:11], 2, v[10:11]
	v_add_co_u32_e32 v10, vcc, v4, v10
	v_add_u32_e32 v14, 1, v3
	v_addc_co_u32_e32 v11, vcc, v5, v11, vcc
	flat_store_dword v[10:11], v14
.LBB11_275:                             ;   in Loop: Header=BB11_267 Depth=1
	s_or_b64 exec, exec, s[10:11]
	v_cmp_gt_i32_e32 vcc, 0, v12
	s_waitcnt vmcnt(0) lgkmcnt(0)
	v_cndmask_b32_e64 v10, v16, 0, vcc
	v_xor_b32_e32 v10, v10, v12
	v_and_b32_e32 v11, v10, v34
	v_cmp_ge_u32_e32 vcc, v11, v33
	s_mov_b64 s[12:13], 0
                                        ; implicit-def: $vgpr10
	s_and_saveexec_b64 s[10:11], vcc
	s_xor_b64 s[10:11], exec, s[10:11]
	s_cbranch_execnz .LBB11_294
; %bb.276:                              ;   in Loop: Header=BB11_267 Depth=1
	s_andn2_saveexec_b64 s[10:11], s[10:11]
	s_cbranch_execnz .LBB11_299
.LBB11_277:                             ;   in Loop: Header=BB11_267 Depth=1
	s_or_b64 exec, exec, s[10:11]
	s_and_saveexec_b64 s[10:11], s[12:13]
	s_cbranch_execz .LBB11_279
.LBB11_278:                             ;   in Loop: Header=BB11_267 Depth=1
	s_waitcnt vmcnt(0) lgkmcnt(0)
	v_ashrrev_i32_e32 v11, 31, v10
	v_lshlrev_b64 v[10:11], 2, v[10:11]
	v_add_co_u32_e32 v10, vcc, v4, v10
	v_add_u32_e32 v12, 2, v3
	v_addc_co_u32_e32 v11, vcc, v5, v11, vcc
	flat_store_dword v[10:11], v12
.LBB11_279:                             ;   in Loop: Header=BB11_267 Depth=1
	s_or_b64 exec, exec, s[10:11]
	v_cmp_gt_i32_e32 vcc, 0, v13
	s_waitcnt vmcnt(0) lgkmcnt(0)
	v_cndmask_b32_e64 v10, v16, 0, vcc
	v_xor_b32_e32 v10, v10, v13
	v_and_b32_e32 v11, v10, v34
	v_cmp_ge_u32_e32 vcc, v11, v33
	s_mov_b64 s[12:13], 0
                                        ; implicit-def: $vgpr10
	s_and_saveexec_b64 s[10:11], vcc
	s_xor_b64 s[10:11], exec, s[10:11]
	s_cbranch_execnz .LBB11_300
; %bb.280:                              ;   in Loop: Header=BB11_267 Depth=1
	s_andn2_saveexec_b64 s[10:11], s[10:11]
	s_cbranch_execnz .LBB11_305
.LBB11_281:                             ;   in Loop: Header=BB11_267 Depth=1
	s_or_b64 exec, exec, s[10:11]
	s_and_saveexec_b64 s[10:11], s[12:13]
	s_cbranch_execz .LBB11_266
	s_branch .LBB11_306
.LBB11_282:                             ;   in Loop: Header=BB11_267 Depth=1
	v_cmp_eq_u32_e32 vcc, v10, v33
	s_mov_b64 s[14:15], 0
                                        ; implicit-def: $vgpr14
	s_and_saveexec_b64 s[12:13], vcc
	s_cbranch_execz .LBB11_286
; %bb.283:                              ;   in Loop: Header=BB11_267 Depth=1
	flat_atomic_add v10, v[8:9], v17 offset:512 glc
                                        ; implicit-def: $vgpr14
	s_waitcnt vmcnt(0) lgkmcnt(0)
	v_cmp_lt_i32_e32 vcc, v10, v32
	s_and_saveexec_b64 s[16:17], vcc
	s_xor_b64 s[16:17], exec, s[16:17]
; %bb.284:                              ;   in Loop: Header=BB11_267 Depth=1
	s_mov_b64 s[14:15], exec
	v_xad_u32 v14, v10, -1, v7
; %bb.285:                              ;   in Loop: Header=BB11_267 Depth=1
	s_or_b64 exec, exec, s[16:17]
	s_and_b64 s[14:15], s[14:15], exec
.LBB11_286:                             ;   in Loop: Header=BB11_267 Depth=1
	s_or_b64 exec, exec, s[12:13]
	s_and_b64 s[12:13], s[14:15], exec
	s_andn2_saveexec_b64 s[10:11], s[10:11]
	s_cbranch_execz .LBB11_269
.LBB11_287:                             ;   in Loop: Header=BB11_267 Depth=1
	flat_atomic_add v14, v[8:9], v17 offset:384 glc
	s_or_b64 s[12:13], s[12:13], exec
	s_or_b64 exec, exec, s[10:11]
	s_and_saveexec_b64 s[10:11], s[12:13]
	s_cbranch_execnz .LBB11_270
	s_branch .LBB11_271
.LBB11_288:                             ;   in Loop: Header=BB11_267 Depth=1
	v_cmp_eq_u32_e32 vcc, v11, v33
	s_mov_b64 s[14:15], 0
                                        ; implicit-def: $vgpr10
	s_and_saveexec_b64 s[12:13], vcc
	s_cbranch_execz .LBB11_292
; %bb.289:                              ;   in Loop: Header=BB11_267 Depth=1
	flat_atomic_add v11, v[8:9], v17 offset:512 glc
                                        ; implicit-def: $vgpr10
	s_waitcnt vmcnt(0) lgkmcnt(0)
	v_cmp_lt_i32_e32 vcc, v11, v32
	s_and_saveexec_b64 s[16:17], vcc
; %bb.290:                              ;   in Loop: Header=BB11_267 Depth=1
	s_mov_b64 s[14:15], exec
	v_xad_u32 v10, v11, -1, v7
; %bb.291:                              ;   in Loop: Header=BB11_267 Depth=1
	s_or_b64 exec, exec, s[16:17]
	s_and_b64 s[14:15], s[14:15], exec
.LBB11_292:                             ;   in Loop: Header=BB11_267 Depth=1
	s_or_b64 exec, exec, s[12:13]
	s_and_b64 s[12:13], s[14:15], exec
	s_andn2_saveexec_b64 s[10:11], s[10:11]
	s_cbranch_execz .LBB11_273
.LBB11_293:                             ;   in Loop: Header=BB11_267 Depth=1
	flat_atomic_add v10, v[8:9], v17 offset:384 glc
	s_or_b64 s[12:13], s[12:13], exec
	s_or_b64 exec, exec, s[10:11]
	s_and_saveexec_b64 s[10:11], s[12:13]
	s_cbranch_execnz .LBB11_274
	s_branch .LBB11_275
.LBB11_294:                             ;   in Loop: Header=BB11_267 Depth=1
	v_cmp_eq_u32_e32 vcc, v11, v33
	s_mov_b64 s[14:15], 0
                                        ; implicit-def: $vgpr10
	s_and_saveexec_b64 s[12:13], vcc
	s_cbranch_execz .LBB11_298
; %bb.295:                              ;   in Loop: Header=BB11_267 Depth=1
	flat_atomic_add v11, v[8:9], v17 offset:512 glc
                                        ; implicit-def: $vgpr10
	s_waitcnt vmcnt(0) lgkmcnt(0)
	v_cmp_lt_i32_e32 vcc, v11, v32
	s_and_saveexec_b64 s[16:17], vcc
; %bb.296:                              ;   in Loop: Header=BB11_267 Depth=1
	s_mov_b64 s[14:15], exec
	v_xad_u32 v10, v11, -1, v7
; %bb.297:                              ;   in Loop: Header=BB11_267 Depth=1
	s_or_b64 exec, exec, s[16:17]
	s_and_b64 s[14:15], s[14:15], exec
.LBB11_298:                             ;   in Loop: Header=BB11_267 Depth=1
	s_or_b64 exec, exec, s[12:13]
	s_and_b64 s[12:13], s[14:15], exec
	s_andn2_saveexec_b64 s[10:11], s[10:11]
	s_cbranch_execz .LBB11_277
.LBB11_299:                             ;   in Loop: Header=BB11_267 Depth=1
	flat_atomic_add v10, v[8:9], v17 offset:384 glc
	s_or_b64 s[12:13], s[12:13], exec
	s_or_b64 exec, exec, s[10:11]
	s_and_saveexec_b64 s[10:11], s[12:13]
	s_cbranch_execnz .LBB11_278
	s_branch .LBB11_279
.LBB11_300:                             ;   in Loop: Header=BB11_267 Depth=1
	v_cmp_eq_u32_e32 vcc, v11, v33
	s_mov_b64 s[14:15], 0
                                        ; implicit-def: $vgpr10
	s_and_saveexec_b64 s[12:13], vcc
	s_cbranch_execz .LBB11_304
; %bb.301:                              ;   in Loop: Header=BB11_267 Depth=1
	flat_atomic_add v11, v[8:9], v17 offset:512 glc
                                        ; implicit-def: $vgpr10
	s_waitcnt vmcnt(0) lgkmcnt(0)
	v_cmp_lt_i32_e32 vcc, v11, v32
	s_and_saveexec_b64 s[16:17], vcc
; %bb.302:                              ;   in Loop: Header=BB11_267 Depth=1
	s_mov_b64 s[14:15], exec
	v_xad_u32 v10, v11, -1, v7
; %bb.303:                              ;   in Loop: Header=BB11_267 Depth=1
	s_or_b64 exec, exec, s[16:17]
	s_and_b64 s[14:15], s[14:15], exec
.LBB11_304:                             ;   in Loop: Header=BB11_267 Depth=1
	s_or_b64 exec, exec, s[12:13]
	s_and_b64 s[12:13], s[14:15], exec
	s_andn2_saveexec_b64 s[10:11], s[10:11]
	s_cbranch_execz .LBB11_281
.LBB11_305:                             ;   in Loop: Header=BB11_267 Depth=1
	flat_atomic_add v10, v[8:9], v17 offset:384 glc
	s_or_b64 s[12:13], s[12:13], exec
	s_or_b64 exec, exec, s[10:11]
	s_and_saveexec_b64 s[10:11], s[12:13]
	s_cbranch_execz .LBB11_266
.LBB11_306:                             ;   in Loop: Header=BB11_267 Depth=1
	s_waitcnt vmcnt(0) lgkmcnt(0)
	v_ashrrev_i32_e32 v11, 31, v10
	v_lshlrev_b64 v[10:11], 2, v[10:11]
	v_add_co_u32_e32 v10, vcc, v4, v10
	v_add_u32_e32 v12, 3, v3
	v_addc_co_u32_e32 v11, vcc, v5, v11, vcc
	flat_store_dword v[10:11], v12
	s_branch .LBB11_266
.LBB11_307:
	s_or_b64 exec, exec, s[6:7]
	v_cmp_gt_u32_e32 vcc, v22, v2
	s_and_saveexec_b64 s[6:7], vcc
	s_cbranch_execz .LBB11_312
; %bb.308:
	v_lshlrev_b32_e32 v3, 2, v2
	s_waitcnt vmcnt(0) lgkmcnt(0)
	v_add_co_u32_e32 v10, vcc, v0, v3
	v_addc_co_u32_e32 v11, vcc, 0, v1, vcc
	flat_load_dword v3, v[10:11]
	v_bfrev_b32_e32 v10, -2
	s_mov_b64 s[10:11], 0
	s_waitcnt vmcnt(0) lgkmcnt(0)
	v_cmp_gt_i32_e32 vcc, 0, v3
	v_cndmask_b32_e64 v10, v10, 0, vcc
	v_xor_b32_e32 v3, v10, v3
	v_and_b32_e32 v3, v3, v34
	v_cmp_ge_u32_e32 vcc, v3, v33
                                        ; implicit-def: $vgpr10
	s_and_saveexec_b64 s[8:9], vcc
	s_xor_b64 s[8:9], exec, s[8:9]
	s_cbranch_execnz .LBB11_319
; %bb.309:
	s_andn2_saveexec_b64 s[8:9], s[8:9]
	s_cbranch_execnz .LBB11_324
.LBB11_310:
	s_or_b64 exec, exec, s[8:9]
	s_and_b64 exec, exec, s[10:11]
	s_cbranch_execz .LBB11_312
.LBB11_311:
	s_waitcnt vmcnt(0) lgkmcnt(0)
	v_ashrrev_i32_e32 v11, 31, v10
	v_lshlrev_b64 v[10:11], 2, v[10:11]
	v_add_co_u32_e32 v10, vcc, v4, v10
	v_addc_co_u32_e32 v11, vcc, v5, v11, vcc
	flat_store_dword v[10:11], v2
.LBB11_312:
	s_or_b64 exec, exec, s[6:7]
	v_lshlrev_b32_e32 v3, 2, v24
	v_add3_u32 v2, v22, v2, v3
	v_cmp_lt_i32_e32 vcc, v2, v6
	s_and_saveexec_b64 s[6:7], vcc
	s_cbranch_execz .LBB11_317
; %bb.313:
	v_ashrrev_i32_e32 v3, 31, v2
	s_waitcnt vmcnt(0) lgkmcnt(0)
	v_lshlrev_b64 v[10:11], 2, v[2:3]
	v_add_co_u32_e32 v0, vcc, v0, v10
	v_addc_co_u32_e32 v1, vcc, v1, v11, vcc
	flat_load_dword v0, v[0:1]
	v_bfrev_b32_e32 v1, -2
	s_mov_b64 s[10:11], 0
	s_waitcnt vmcnt(0) lgkmcnt(0)
	v_cmp_gt_i32_e32 vcc, 0, v0
	v_cndmask_b32_e64 v1, v1, 0, vcc
	v_xor_b32_e32 v0, v1, v0
	v_and_b32_e32 v1, v0, v34
	v_cmp_ge_u32_e32 vcc, v1, v33
                                        ; implicit-def: $vgpr0
	s_and_saveexec_b64 s[8:9], vcc
	s_xor_b64 s[8:9], exec, s[8:9]
	s_cbranch_execnz .LBB11_325
; %bb.314:
	s_andn2_saveexec_b64 s[8:9], s[8:9]
	s_cbranch_execnz .LBB11_330
.LBB11_315:
	s_or_b64 exec, exec, s[8:9]
	s_and_b64 exec, exec, s[10:11]
	s_cbranch_execz .LBB11_317
.LBB11_316:
	s_waitcnt vmcnt(0) lgkmcnt(0)
	v_ashrrev_i32_e32 v1, 31, v0
	v_lshlrev_b64 v[0:1], 2, v[0:1]
	v_add_co_u32_e32 v0, vcc, v4, v0
	v_addc_co_u32_e32 v1, vcc, v5, v1, vcc
	flat_store_dword v[0:1], v2
.LBB11_317:
	s_or_b64 exec, exec, s[6:7]
.LBB11_318:
	s_or_b64 exec, exec, s[4:5]
	v_accvgpr_read_b32 v58, a10             ;  Reload Reuse
	v_accvgpr_read_b32 v57, a9              ;  Reload Reuse
	v_accvgpr_read_b32 v56, a8              ;  Reload Reuse
	;; [unrolled: 1-line block ×10, first 2 shown]
	s_waitcnt vmcnt(0) lgkmcnt(0)
	s_setpc_b64 s[30:31]
.LBB11_319:
	v_cmp_eq_u32_e32 vcc, v3, v33
	s_mov_b64 s[12:13], 0
                                        ; implicit-def: $vgpr10
	s_and_saveexec_b64 s[10:11], vcc
	s_cbranch_execz .LBB11_323
; %bb.320:
	v_mov_b32_e32 v3, 1
	flat_atomic_add v3, v[8:9], v3 offset:512 glc
                                        ; implicit-def: $vgpr10
	s_waitcnt vmcnt(0) lgkmcnt(0)
	v_cmp_lt_i32_e32 vcc, v3, v32
	s_and_saveexec_b64 s[14:15], vcc
	s_xor_b64 s[14:15], exec, s[14:15]
; %bb.321:
	s_mov_b64 s[12:13], exec
	v_xad_u32 v10, v3, -1, v7
; %bb.322:
	s_or_b64 exec, exec, s[14:15]
	s_and_b64 s[12:13], s[12:13], exec
.LBB11_323:
	s_or_b64 exec, exec, s[10:11]
	s_and_b64 s[10:11], s[12:13], exec
	s_andn2_saveexec_b64 s[8:9], s[8:9]
	s_cbranch_execz .LBB11_310
.LBB11_324:
	v_mov_b32_e32 v3, 1
	flat_atomic_add v10, v[8:9], v3 offset:384 glc
	s_or_b64 s[10:11], s[10:11], exec
	s_or_b64 exec, exec, s[8:9]
	s_and_b64 exec, exec, s[10:11]
	s_cbranch_execnz .LBB11_311
	s_branch .LBB11_312
.LBB11_325:
	v_cmp_eq_u32_e32 vcc, v1, v33
	s_mov_b64 s[12:13], 0
                                        ; implicit-def: $vgpr0
	s_and_saveexec_b64 s[10:11], vcc
	s_cbranch_execz .LBB11_329
; %bb.326:
	v_mov_b32_e32 v0, 1
	flat_atomic_add v1, v[8:9], v0 offset:512 glc
                                        ; implicit-def: $vgpr0
	s_waitcnt vmcnt(0) lgkmcnt(0)
	v_cmp_lt_i32_e32 vcc, v1, v32
	s_and_saveexec_b64 s[14:15], vcc
	s_xor_b64 s[14:15], exec, s[14:15]
; %bb.327:
	s_mov_b64 s[12:13], exec
	v_xad_u32 v0, v1, -1, v7
; %bb.328:
	s_or_b64 exec, exec, s[14:15]
	s_and_b64 s[12:13], s[12:13], exec
.LBB11_329:
	s_or_b64 exec, exec, s[10:11]
	s_and_b64 s[10:11], s[12:13], exec
                                        ; implicit-def: $vgpr8_vgpr9
	s_andn2_saveexec_b64 s[8:9], s[8:9]
	s_cbranch_execz .LBB11_315
.LBB11_330:
	v_mov_b32_e32 v0, 1
	flat_atomic_add v0, v[8:9], v0 offset:384 glc
	s_or_b64 s[10:11], s[10:11], exec
	s_or_b64 exec, exec, s[8:9]
	s_and_b64 exec, exec, s[10:11]
	s_cbranch_execnz .LBB11_316
	s_branch .LBB11_317
.Lfunc_end11:
	.size	_ZN5aiter2ob11last_filterIfiLi11ELb0ELb0EEEvPKT_PKT0_PS2_PS5_S5_S5_PNS0_7CounterIS2_S5_EEbib, .Lfunc_end11-_ZN5aiter2ob11last_filterIfiLi11ELb0ELb0EEEvPKT_PKT0_PS2_PS5_S5_S5_PNS0_7CounterIS2_S5_EEbib
                                        ; -- End function
	.section	.AMDGPU.csdata,"",@progbits
; Function info:
; codeLenInByte = 7800
; NumSgprs: 36
; NumVgprs: 59
; NumAgprs: 11
; TotalNumVgprs: 71
; ScratchSize: 0
; MemoryBound: 0
	.section	.text._ZN5aiter2ob27radix_topk_one_block_kernelIfiLi11ELi1024ELb0ELb0ELNS0_5PhaseE0EEEvPKT_PKT0_lS8_S8_S6_PS3_PS6_bPci,"axG",@progbits,_ZN5aiter2ob27radix_topk_one_block_kernelIfiLi11ELi1024ELb0ELb0ELNS0_5PhaseE0EEEvPKT_PKT0_lS8_S8_S6_PS3_PS6_bPci,comdat
	.protected	_ZN5aiter2ob27radix_topk_one_block_kernelIfiLi11ELi1024ELb0ELb0ELNS0_5PhaseE0EEEvPKT_PKT0_lS8_S8_S6_PS3_PS6_bPci ; -- Begin function _ZN5aiter2ob27radix_topk_one_block_kernelIfiLi11ELi1024ELb0ELb0ELNS0_5PhaseE0EEEvPKT_PKT0_lS8_S8_S6_PS3_PS6_bPci
	.globl	_ZN5aiter2ob27radix_topk_one_block_kernelIfiLi11ELi1024ELb0ELb0ELNS0_5PhaseE0EEEvPKT_PKT0_lS8_S8_S6_PS3_PS6_bPci
	.p2align	8
	.type	_ZN5aiter2ob27radix_topk_one_block_kernelIfiLi11ELi1024ELb0ELb0ELNS0_5PhaseE0EEEvPKT_PKT0_lS8_S8_S6_PS3_PS6_bPci,@function
_ZN5aiter2ob27radix_topk_one_block_kernelIfiLi11ELi1024ELb0ELb0ELNS0_5PhaseE0EEEvPKT_PKT0_lS8_S8_S6_PS3_PS6_bPci: ; @_ZN5aiter2ob27radix_topk_one_block_kernelIfiLi11ELi1024ELb0ELb0ELNS0_5PhaseE0EEEvPKT_PKT0_lS8_S8_S6_PS3_PS6_bPci
; %bb.0:
	s_add_u32 flat_scratch_lo, s6, s9
	s_addc_u32 flat_scratch_hi, s7, 0
	s_load_dwordx8 s[20:27], s[4:5], 0x0
	s_load_dwordx2 s[6:7], s[4:5], 0x20
	s_add_u32 s0, s0, s9
	s_addc_u32 s1, s1, 0
	s_mov_b32 s12, s8
	s_waitcnt lgkmcnt(0)
	s_cmp_eq_u64 s[26:27], 0
	s_cselect_b64 s[8:9], -1, 0
	s_cmp_eq_u64 s[6:7], 0
	s_cselect_b64 s[10:11], -1, 0
	s_mov_b32 s13, 0
	s_or_b64 s[8:9], s[8:9], s[10:11]
	v_mov_b32_e32 v40, v0
	s_and_b64 vcc, exec, s[8:9]
	s_mov_b32 s33, s13
	s_mov_b32 s8, s24
	;; [unrolled: 1-line block ×3, first 2 shown]
	s_cbranch_vccnz .LBB12_2
; %bb.1:
	s_lshl_b64 s[8:9], s[12:13], 2
	s_add_u32 s6, s6, s8
	s_addc_u32 s7, s7, s9
	s_add_u32 s10, s26, s8
	s_addc_u32 s11, s27, s9
	s_load_dword s33, s[10:11], 0x0
	s_load_dword s8, s[6:7], 0x0
.LBB12_2:
	s_load_dword s40, s[4:5], 0x28
	s_waitcnt lgkmcnt(0)
	s_sub_i32 s13, s8, s33
	v_cmp_ne_u32_e64 s[8:9], 0, v40
	v_cmp_eq_u32_e64 s[6:7], 0, v40
	s_and_saveexec_b64 s[10:11], s[6:7]
	s_cbranch_execz .LBB12_4
; %bb.3:
	v_mov_b32_e32 v3, 0
	v_mov_b32_e32 v0, s40
	;; [unrolled: 1-line block ×4, first 2 shown]
	ds_write_b128 v3, v[0:3]
	ds_write2_b32 v3, v3, v3 offset0:96 offset1:128
.LBB12_4:
	s_or_b64 exec, exec, s[10:11]
	s_load_dwordx2 s[28:29], s[4:5], 0x38
	s_ashr_i32 s10, s40, 31
	s_mul_hi_u32 s11, s40, s12
	s_mul_i32 s10, s10, s12
	s_add_i32 s11, s11, s10
	s_mul_i32 s10, s40, s12
	s_lshl_b64 s[34:35], s[10:11], 2
	s_waitcnt lgkmcnt(0)
	s_add_u32 s41, s28, s34
	s_addc_u32 s42, s29, s35
	s_cmp_gt_i32 s13, s40
	s_mov_b64 s[10:11], -1
	s_barrier
	s_cbranch_scc1 .LBB12_14
; %bb.5:
	v_cmp_gt_i32_e32 vcc, s40, v40
	s_and_saveexec_b64 s[14:15], vcc
	s_cbranch_execz .LBB12_13
; %bb.6:
	v_xad_u32 v1, v40, -1, s40
	s_movk_i32 s10, 0x3ff
	v_cmp_lt_u32_e32 vcc, s10, v1
	s_mov_b64 s[10:11], -1
	v_mov_b32_e32 v0, v40
	s_and_saveexec_b64 s[16:17], vcc
	s_cbranch_execz .LBB12_10
; %bb.7:
	v_lshrrev_b32_e32 v0, 10, v1
	v_add_u32_e32 v4, 1, v0
	v_and_b32_e32 v5, 0x7ffffe, v4
	v_or_b32_e32 v41, 0x400, v40
	s_mov_b32 s26, s13
	s_mov_b32 s27, s33
	s_mov_b64 s[18:19], 0
	v_mov_b32_e32 v6, s42
	v_mov_b32_e32 v1, 0
	;; [unrolled: 1-line block ×3, first 2 shown]
	v_pk_mov_b32 v[2:3], v[40:41], v[40:41] op_sel:[0,1]
.LBB12_8:                               ; =>This Inner Loop Header: Depth=1
	v_add_u32_e32 v8, s33, v2
	v_cmp_gt_i32_e32 vcc, s13, v2
	v_add_u32_e32 v9, s27, v3
	v_mov_b32_e32 v0, v2
	v_cmp_gt_i32_e64 s[10:11], s26, v3
	v_add_u32_e32 v7, -2, v7
	v_cndmask_b32_e64 v12, -1, v9, s[10:11]
	v_cndmask_b32_e32 v13, -1, v8, vcc
	v_lshlrev_b64 v[8:9], 2, v[0:1]
	v_mov_b32_e32 v0, v3
	v_cmp_eq_u32_e32 vcc, 0, v7
	v_add_co_u32_e64 v8, s[10:11], s41, v8
	v_lshlrev_b64 v[10:11], 2, v[0:1]
	v_add_u32_e32 v2, 0x800, v2
	v_add_u32_e32 v3, 0x800, v3
	v_addc_co_u32_e64 v9, s[10:11], v6, v9, s[10:11]
	s_or_b64 s[18:19], vcc, s[18:19]
	v_add_co_u32_e32 v10, vcc, s41, v10
	v_addc_co_u32_e32 v11, vcc, v6, v11, vcc
	global_store_dword v[8:9], v13, off
	global_store_dword v[10:11], v12, off
	s_andn2_b64 exec, exec, s[18:19]
	s_cbranch_execnz .LBB12_8
; %bb.9:
	s_or_b64 exec, exec, s[18:19]
	v_cmp_ne_u32_e32 vcc, v4, v5
	v_lshl_or_b32 v0, v5, 10, v40
	s_orn2_b64 s[10:11], vcc, exec
.LBB12_10:
	s_or_b64 exec, exec, s[16:17]
	s_and_b64 exec, exec, s[10:11]
	s_cbranch_execz .LBB12_13
; %bb.11:
	v_mov_b32_e32 v1, 0
	s_add_u32 s10, s28, s34
	v_lshlrev_b64 v[2:3], 2, v[0:1]
	s_addc_u32 s11, s29, s35
	v_mov_b32_e32 v1, s11
	v_add_co_u32_e32 v2, vcc, s10, v2
	v_addc_co_u32_e32 v3, vcc, v1, v3, vcc
	s_mov_b64 s[16:17], 0
.LBB12_12:                              ; =>This Inner Loop Header: Depth=1
	v_add_u32_e32 v1, s33, v0
	v_cmp_gt_i32_e32 vcc, s13, v0
	v_add_u32_e32 v0, 0x400, v0
	v_cndmask_b32_e32 v1, -1, v1, vcc
	v_cmp_le_i32_e64 s[10:11], s40, v0
	global_store_dword v[2:3], v1, off
	v_add_co_u32_e32 v2, vcc, 0x1000, v2
	s_or_b64 s[16:17], s[10:11], s[16:17]
	v_addc_co_u32_e32 v3, vcc, 0, v3, vcc
	s_andn2_b64 exec, exec, s[16:17]
	s_cbranch_execnz .LBB12_12
.LBB12_13:
	s_or_b64 exec, exec, s[14:15]
	s_mov_b64 s[10:11], 0
.LBB12_14:
	s_andn2_b64 vcc, exec, s[10:11]
	s_cbranch_vccnz .LBB12_228
; %bb.15:
	s_load_dword s14, s[4:5], 0x64
	s_movk_i32 s10, 0x800
	s_waitcnt lgkmcnt(0)
	s_and_b32 s43, s14, 0xffff
	v_cvt_f32_u32_e32 v0, s43
	v_add_u32_e32 v1, s43, v40
	v_mov_b32_e32 v2, s43
	s_sub_i32 s15, 0, s43
	v_rcp_iflag_f32_e32 v0, v0
	v_cmp_gt_u32_e32 vcc, s10, v1
	v_max_u32_e32 v3, 0x800, v1
	v_addc_co_u32_e64 v1, s[10:11], v40, v2, vcc
	v_mul_f32_e32 v0, 0x4f7ffffe, v0
	v_cvt_u32_f32_e32 v0, v0
	v_sub_u32_e32 v1, v3, v1
	v_mul_lo_u32 v2, s15, v0
	v_mul_hi_u32 v2, v0, v2
	v_add_u32_e32 v0, v0, v2
	v_mul_hi_u32 v0, v1, v0
	v_mul_lo_u32 v2, v0, s43
	v_sub_u32_e32 v1, v1, v2
	v_add_u32_e32 v3, 1, v0
	v_cmp_le_u32_e64 s[10:11], s43, v1
	v_subrev_u32_e32 v2, s43, v1
	v_cndmask_b32_e64 v0, v0, v3, s[10:11]
	v_cndmask_b32_e64 v1, v1, v2, s[10:11]
	v_add_u32_e32 v2, 1, v0
	v_cmp_le_u32_e64 s[10:11], s43, v1
	v_cndmask_b32_e64 v0, v0, v2, s[10:11]
	v_addc_co_u32_e64 v33, s[10:11], 0, v0, vcc
	v_addc_co_u32_e32 v27, vcc, 1, v0, vcc
	v_cmp_lt_u32_e32 vcc, 1, v27
	v_cmp_eq_u16_e64 s[10:11], s14, 1
	s_and_b64 s[30:31], vcc, s[10:11]
	s_mov_b64 s[14:15], -1
	v_mov_b32_e32 v0, v40
	s_and_saveexec_b64 s[10:11], s[30:31]
	s_cbranch_execz .LBB12_24
; %bb.16:
	v_add_u32_e32 v1, -1, v33
	v_lshrrev_b32_e32 v0, 1, v1
	v_add_u32_e32 v0, 1, v0
	v_cmp_lt_u32_e32 vcc, 13, v1
	v_mov_b32_e32 v4, 0
	s_and_saveexec_b64 s[14:15], vcc
	s_cbranch_execz .LBB12_20
; %bb.17:
	v_mov_b32_e32 v2, 0x2380
	v_and_b32_e32 v1, -8, v0
	v_lshl_add_u32 v2, v40, 2, v2
	s_mov_b32 s18, 0
	s_mov_b64 s[16:17], 0
	v_mov_b32_e32 v3, 0
.LBB12_18:                              ; =>This Inner Loop Header: Depth=1
	v_add_u32_e32 v1, -8, v1
	s_add_i32 s18, s18, 16
	v_cmp_eq_u32_e32 vcc, 0, v1
	ds_write2_b32 v2, v3, v3 offset1:1
	ds_write2_b32 v2, v3, v3 offset0:2 offset1:3
	ds_write2_b32 v2, v3, v3 offset0:4 offset1:5
	;; [unrolled: 1-line block ×7, first 2 shown]
	v_add_u32_e32 v2, 64, v2
	s_or_b64 s[16:17], vcc, s[16:17]
	v_mov_b32_e32 v4, s18
	s_andn2_b64 exec, exec, s[16:17]
	s_cbranch_execnz .LBB12_18
; %bb.19:
	s_or_b64 exec, exec, s[16:17]
.LBB12_20:
	s_or_b64 exec, exec, s[14:15]
	v_and_b32_e32 v0, 7, v0
	v_cmp_ne_u32_e32 vcc, 0, v0
	s_and_saveexec_b64 s[14:15], vcc
	s_cbranch_execz .LBB12_23
; %bb.21:
	v_lshlrev_b32_e32 v1, 2, v4
	v_lshlrev_b32_e32 v2, 2, v40
	s_movk_i32 s16, 0x2380
	v_add3_u32 v1, v1, v2, s16
	s_mov_b64 s[16:17], 0
	v_mov_b32_e32 v2, 0
.LBB12_22:                              ; =>This Inner Loop Header: Depth=1
	v_add_u32_e32 v0, -1, v0
	v_cmp_eq_u32_e32 vcc, 0, v0
	ds_write2_b32 v1, v2, v2 offset1:1
	s_or_b64 s[16:17], vcc, s[16:17]
	v_add_u32_e32 v1, 8, v1
	s_andn2_b64 exec, exec, s[16:17]
	s_cbranch_execnz .LBB12_22
.LBB12_23:
	s_or_b64 exec, exec, s[14:15]
	v_and_b32_e32 v1, -2, v27
	v_cmp_ne_u32_e32 vcc, v27, v1
	v_add_u32_e32 v0, v40, v1
	s_orn2_b64 s[14:15], vcc, exec
.LBB12_24:
	s_or_b64 exec, exec, s[10:11]
	s_lshl_b32 s44, s43, 2
	s_and_saveexec_b64 s[10:11], s[14:15]
	s_cbranch_execz .LBB12_27
; %bb.25:
	v_mov_b32_e32 v1, 0x2380
	v_lshl_add_u32 v1, v0, 2, v1
	s_mov_b64 s[14:15], 0
	v_mov_b32_e32 v2, 0
	s_movk_i32 s16, 0x7ff
.LBB12_26:                              ; =>This Inner Loop Header: Depth=1
	v_add_u32_e32 v0, s43, v0
	v_cmp_lt_u32_e32 vcc, s16, v0
	ds_write_b32 v1, v2
	s_or_b64 s[14:15], vcc, s[14:15]
	v_add_u32_e32 v1, s44, v1
	s_andn2_b64 exec, exec, s[14:15]
	s_cbranch_execnz .LBB12_26
.LBB12_27:
	s_or_b64 exec, exec, s[10:11]
	s_and_saveexec_b64 s[10:11], s[6:7]
	s_cbranch_execz .LBB12_29
; %bb.28:
	v_mov_b32_e32 v0, 0
	ds_write_b32 v0, v0 offset:128
.LBB12_29:
	s_or_b64 exec, exec, s[10:11]
	s_mul_i32 s10, s12, s25
	s_mul_hi_u32 s11, s12, s24
	s_add_i32 s11, s11, s10
	s_mul_i32 s10, s12, s24
	s_ashr_i32 s14, s33, 31
	s_add_u32 s10, s10, s33
	s_addc_u32 s11, s11, s14
	s_lshl_b64 s[24:25], s[10:11], 2
	s_add_u32 s46, s20, s24
	s_addc_u32 s45, s21, s25
	s_and_b32 s10, s46, 15
	s_sub_i32 s14, 16, s10
	s_mov_b32 s11, 0
	s_lshr_b32 s14, s14, 2
	s_cmp_lg_u64 s[10:11], 0
	s_cselect_b32 s10, s14, 0
	s_min_i32 s14, s10, s13
	s_ashr_i32 s15, s14, 31
	s_lshl_b64 s[10:11], s[14:15], 2
	s_add_u32 s47, s46, s10
	s_addc_u32 s48, s45, s11
	s_sub_i32 s10, s13, s14
	s_ashr_i32 s11, s10, 31
	s_lshr_b32 s11, s11, 30
	s_add_i32 s10, s10, s11
	s_ashr_i32 s26, s10, 2
	s_ashr_i32 s27, s26, 31
	s_lshl_b32 s15, s43, 4
	s_add_u32 s50, s47, s15
	v_mov_b32_e32 v41, 0
	s_addc_u32 s52, s48, 0
	v_mad_u64_u32 v[16:17], s[10:11], s43, 3, v[40:41]
	s_add_u32 s51, s50, s15
	s_mov_b64 s[16:17], 0
	s_mul_i32 s49, s43, 3
	v_cmp_gt_u64_e64 s[18:19], s[26:27], v[16:17]
	s_addc_u32 s53, s52, 0
	v_mov_b32_e32 v8, v40
	s_waitcnt lgkmcnt(0)
	s_barrier
	s_and_saveexec_b64 s[20:21], s[18:19]
	s_cbranch_execz .LBB12_33
; %bb.30:
	v_mov_b32_e32 v12, s48
	v_mov_b32_e32 v13, s52
	;; [unrolled: 1-line block ×5, first 2 shown]
	v_pk_mov_b32 v[10:11], v[16:17], v[16:17] op_sel:[0,1]
	v_pk_mov_b32 v[8:9], v[40:41], v[40:41] op_sel:[0,1]
.LBB12_31:                              ; =>This Inner Loop Header: Depth=1
	v_lshlrev_b64 v[4:5], 4, v[8:9]
	v_add_co_u32_e32 v0, vcc, s47, v4
	v_addc_co_u32_e32 v1, vcc, v12, v5, vcc
	global_load_dwordx4 v[0:3], v[0:1], off
	v_lshlrev_b64 v[6:7], 4, v[10:11]
	v_add_co_u32_e32 v10, vcc, s50, v4
	v_addc_co_u32_e32 v11, vcc, v13, v5, vcc
	global_load_dwordx4 v[20:23], v[10:11], off
	v_add_co_u32_e32 v24, vcc, s51, v4
	v_addc_co_u32_e32 v25, vcc, v18, v5, vcc
	v_add_co_u32_e32 v28, vcc, s47, v6
	v_addc_co_u32_e32 v29, vcc, v12, v7, vcc
	v_add_u32_e32 v8, s44, v8
	v_ashrrev_i32_e32 v9, 31, v8
	s_waitcnt vmcnt(1)
	v_cmp_gt_i32_e32 vcc, 0, v0
	v_cndmask_b32_e64 v4, v14, 0, vcc
	v_cmp_gt_i32_e32 vcc, 0, v1
	v_cndmask_b32_e64 v5, v14, 0, vcc
	;; [unrolled: 2-line block ×4, first 2 shown]
	v_xor_b32_e32 v0, v4, v0
	v_xor_b32_e32 v1, v5, v1
	;; [unrolled: 1-line block ×4, first 2 shown]
	v_lshrrev_b32_e32 v0, 19, v0
	v_lshrrev_b32_e32 v1, 19, v1
	;; [unrolled: 1-line block ×4, first 2 shown]
	v_and_b32_e32 v0, 0x1ffc, v0
	v_and_b32_e32 v1, 0x1ffc, v1
	;; [unrolled: 1-line block ×4, first 2 shown]
	ds_add_u32 v0, v15 offset:9088
	ds_add_u32 v1, v15 offset:9088
	;; [unrolled: 1-line block ×4, first 2 shown]
	global_load_dwordx4 v[4:7], v[24:25], off
	global_load_dwordx4 v[0:3], v[28:29], off
	s_waitcnt vmcnt(2)
	v_cmp_gt_i32_e64 s[10:11], 0, v20
	v_cndmask_b32_e64 v11, v14, 0, s[10:11]
	v_cmp_gt_i32_e64 s[10:11], 0, v21
	v_cndmask_b32_e64 v19, v14, 0, s[10:11]
	;; [unrolled: 2-line block ×4, first 2 shown]
	v_xor_b32_e32 v11, v11, v20
	v_xor_b32_e32 v19, v19, v21
	;; [unrolled: 1-line block ×4, first 2 shown]
	v_lshrrev_b32_e32 v11, 19, v11
	v_lshrrev_b32_e32 v19, 19, v19
	;; [unrolled: 1-line block ×4, first 2 shown]
	v_and_b32_e32 v11, 0x1ffc, v11
	v_and_b32_e32 v19, 0x1ffc, v19
	;; [unrolled: 1-line block ×4, first 2 shown]
	ds_add_u32 v11, v15 offset:9088
	ds_add_u32 v19, v15 offset:9088
	;; [unrolled: 1-line block ×4, first 2 shown]
	v_add_co_u32_e32 v10, vcc, s49, v8
	s_waitcnt vmcnt(1)
	v_cmp_gt_i32_e64 s[10:11], 0, v4
	v_cndmask_b32_e64 v11, v14, 0, s[10:11]
	v_cmp_gt_i32_e64 s[10:11], 0, v5
	v_cndmask_b32_e64 v19, v14, 0, s[10:11]
	;; [unrolled: 2-line block ×4, first 2 shown]
	s_waitcnt vmcnt(0)
	v_cmp_gt_i32_e64 s[10:11], 0, v0
	v_cndmask_b32_e64 v22, v14, 0, s[10:11]
	v_cmp_gt_i32_e64 s[10:11], 0, v1
	v_cndmask_b32_e64 v23, v14, 0, s[10:11]
	;; [unrolled: 2-line block ×4, first 2 shown]
	v_xor_b32_e32 v4, v11, v4
	v_xor_b32_e32 v5, v19, v5
	;; [unrolled: 1-line block ×8, first 2 shown]
	v_lshrrev_b32_e32 v4, 19, v4
	v_lshrrev_b32_e32 v5, 19, v5
	;; [unrolled: 1-line block ×8, first 2 shown]
	v_and_b32_e32 v4, 0x1ffc, v4
	v_and_b32_e32 v5, 0x1ffc, v5
	;; [unrolled: 1-line block ×8, first 2 shown]
	ds_add_u32 v4, v15 offset:9088
	ds_add_u32 v5, v15 offset:9088
	;; [unrolled: 1-line block ×8, first 2 shown]
	v_addc_co_u32_e32 v11, vcc, 0, v9, vcc
	v_cmp_le_u64_e32 vcc, s[26:27], v[10:11]
	s_or_b64 s[16:17], vcc, s[16:17]
	s_andn2_b64 exec, exec, s[16:17]
	s_cbranch_execnz .LBB12_31
; %bb.32:
	s_or_b64 exec, exec, s[16:17]
.LBB12_33:
	s_or_b64 exec, exec, s[20:21]
	v_cmp_gt_i32_e32 vcc, s26, v8
	s_and_saveexec_b64 s[10:11], vcc
	s_cbranch_execz .LBB12_36
; %bb.34:
	s_mov_b64 s[16:17], 0
	v_mov_b32_e32 v0, s48
	v_mov_b32_e32 v1, 0x7fe00000
	;; [unrolled: 1-line block ×3, first 2 shown]
.LBB12_35:                              ; =>This Inner Loop Header: Depth=1
	v_ashrrev_i32_e32 v9, 31, v8
	v_lshlrev_b64 v[4:5], 4, v[8:9]
	v_add_co_u32_e32 v4, vcc, s47, v4
	v_addc_co_u32_e32 v5, vcc, v0, v5, vcc
	global_load_dwordx4 v[4:7], v[4:5], off
	v_add_u32_e32 v8, s43, v8
	s_waitcnt vmcnt(0)
	v_cmp_gt_i32_e32 vcc, 0, v4
	v_cndmask_b32_e64 v3, v1, 0, vcc
	v_cmp_gt_i32_e32 vcc, 0, v5
	v_cndmask_b32_e64 v9, v1, 0, vcc
	;; [unrolled: 2-line block ×3, first 2 shown]
	v_cmp_gt_i32_e32 vcc, 0, v7
	v_xor_b32_e32 v3, v3, v4
	v_cndmask_b32_e64 v11, v1, 0, vcc
	v_xor_b32_e32 v4, v9, v5
	v_xor_b32_e32 v5, v10, v6
	v_lshrrev_b32_e32 v3, 19, v3
	v_xor_b32_e32 v6, v11, v7
	v_lshrrev_b32_e32 v4, 19, v4
	v_lshrrev_b32_e32 v5, 19, v5
	v_and_b32_e32 v3, 0x1ffc, v3
	v_lshrrev_b32_e32 v6, 19, v6
	v_and_b32_e32 v4, 0x1ffc, v4
	v_and_b32_e32 v5, 0x1ffc, v5
	ds_add_u32 v3, v2 offset:9088
	ds_add_u32 v4, v2 offset:9088
	;; [unrolled: 1-line block ×3, first 2 shown]
	v_and_b32_e32 v3, 0x1ffc, v6
	ds_add_u32 v3, v2 offset:9088
	v_cmp_le_i32_e32 vcc, s26, v8
	s_or_b64 s[16:17], vcc, s[16:17]
	s_andn2_b64 exec, exec, s[16:17]
	s_cbranch_execnz .LBB12_35
.LBB12_36:
	s_or_b64 exec, exec, s[10:11]
	v_lshlrev_b32_e32 v0, 2, v40
	v_mov_b32_e32 v1, s45
	v_add_co_u32_e32 v18, vcc, s46, v0
	v_cmp_gt_u32_e64 s[10:11], s14, v40
	v_addc_co_u32_e32 v19, vcc, 0, v1, vcc
	s_and_saveexec_b64 s[16:17], s[10:11]
	s_cbranch_execz .LBB12_38
; %bb.37:
	global_load_dword v0, v[18:19], off
	v_mov_b32_e32 v1, 0x7fe00000
	s_waitcnt vmcnt(0)
	v_cmp_gt_i32_e32 vcc, 0, v0
	v_cndmask_b32_e64 v1, v1, 0, vcc
	v_xor_b32_e32 v0, v1, v0
	v_lshrrev_b32_e32 v0, 19, v0
	v_and_b32_e32 v0, 0x1ffc, v0
	v_mov_b32_e32 v1, 1
	ds_add_u32 v0, v1 offset:9088
.LBB12_38:
	s_or_b64 exec, exec, s[16:17]
	s_lshl_b32 s15, s26, 2
	s_add_i32 s15, s15, s14
	v_add_u32_e32 v0, s15, v40
	v_ashrrev_i32_e32 v1, 31, v0
	v_cmp_gt_i32_e64 s[14:15], s13, v0
	v_lshlrev_b64 v[0:1], 2, v[0:1]
	v_mov_b32_e32 v2, s45
	v_add_co_u32_e32 v20, vcc, s46, v0
	v_addc_co_u32_e32 v21, vcc, v2, v1, vcc
	s_and_saveexec_b64 s[16:17], s[14:15]
	s_cbranch_execz .LBB12_40
; %bb.39:
	global_load_dword v0, v[20:21], off
	v_mov_b32_e32 v1, 0x7fe00000
	s_waitcnt vmcnt(0)
	v_cmp_gt_i32_e32 vcc, 0, v0
	v_cndmask_b32_e64 v1, v1, 0, vcc
	v_xor_b32_e32 v0, v1, v0
	v_lshrrev_b32_e32 v0, 19, v0
	v_and_b32_e32 v0, 0x1ffc, v0
	v_mov_b32_e32 v1, 1
	ds_add_u32 v0, v1 offset:9088
.LBB12_40:
	s_or_b64 exec, exec, s[16:17]
	v_lshlrev_b32_e32 v34, 2, v40
	s_mov_b64 s[16:17], src_shared_base
	v_add_u32_e32 v12, 0x2380, v34
	v_mov_b32_e32 v13, s17
	v_add_u32_e32 v14, 0x3380, v34
	v_mov_b32_e32 v15, s17
	s_waitcnt lgkmcnt(0)
	s_barrier
	flat_load_dword v0, v[12:13] glc
	s_waitcnt vmcnt(0)
	flat_load_dword v1, v[14:15] glc
	s_waitcnt vmcnt(0)
	v_lshrrev_b32_e32 v3, 3, v40
	v_or_b32_e32 v4, 0x400, v40
	v_lshlrev_b32_e32 v5, 1, v40
	v_lshrrev_b32_e32 v6, 4, v40
	v_and_b32_e32 v8, 0x7c, v3
	v_lshrrev_b32_e32 v9, 3, v4
	v_add_lshl_u32 v3, v6, v5, 2
	v_add_u32_e32 v4, v34, v8
	v_and_b32_e32 v5, 0xfc, v9
	v_add_u32_e32 v5, v5, v34
	v_lshrrev_b32_e32 v7, 1, v40
	v_mov_b32_e32 v2, 0x280
	v_lshl_add_u32 v6, v40, 4, v7
	v_cmp_gt_u32_e64 s[16:17], 64, v40
	v_lshl_add_u32 v26, v6, 2, v2
	s_waitcnt lgkmcnt(0)
	ds_write_b32 v4, v0 offset:640
	ds_write_b32 v5, v1 offset:4736
	s_waitcnt lgkmcnt(0)
	s_barrier
	ds_read2_b32 v[0:1], v3 offset0:160 offset1:161
	s_waitcnt lgkmcnt(0)
	s_barrier
	v_add_u32_e32 v6, v1, v0
	ds_write_b32 v4, v6 offset:640
	s_waitcnt lgkmcnt(0)
	s_barrier
	s_and_saveexec_b64 s[20:21], s[16:17]
	s_cbranch_execz .LBB12_42
; %bb.41:
	ds_read2_b32 v[8:9], v26 offset1:1
	ds_read2_b32 v[10:11], v26 offset0:2 offset1:3
	ds_read2_b32 v[22:23], v26 offset0:4 offset1:5
	;; [unrolled: 1-line block ×7, first 2 shown]
	s_waitcnt lgkmcnt(7)
	v_add_u32_e32 v7, v9, v8
	s_waitcnt lgkmcnt(6)
	v_add3_u32 v7, v7, v10, v11
	s_waitcnt lgkmcnt(5)
	v_add3_u32 v7, v7, v22, v23
	;; [unrolled: 2-line block ×5, first 2 shown]
	v_mbcnt_lo_u32_b32 v32, -1, 0
	s_waitcnt lgkmcnt(1)
	v_add3_u32 v7, v7, v36, v37
	v_mbcnt_hi_u32_b32 v32, -1, v32
	s_waitcnt lgkmcnt(0)
	v_add3_u32 v7, v7, v38, v39
	v_and_b32_e32 v35, 15, v32
	v_cmp_ne_u32_e32 vcc, 0, v35
	v_mov_b32_dpp v42, v7 row_shr:1 row_mask:0xf bank_mask:0xf
	v_cndmask_b32_e32 v42, 0, v42, vcc
	v_add_u32_e32 v7, v42, v7
	v_cmp_lt_u32_e32 vcc, 1, v35
	s_nop 0
	v_mov_b32_dpp v42, v7 row_shr:2 row_mask:0xf bank_mask:0xf
	v_cndmask_b32_e32 v42, 0, v42, vcc
	v_add_u32_e32 v7, v7, v42
	v_cmp_lt_u32_e32 vcc, 3, v35
	s_nop 0
	;; [unrolled: 5-line block ×3, first 2 shown]
	v_mov_b32_dpp v42, v7 row_shr:8 row_mask:0xf bank_mask:0xf
	v_cndmask_b32_e32 v35, 0, v42, vcc
	v_add_u32_e32 v7, v7, v35
	v_bfe_i32 v42, v32, 4, 1
	v_cmp_lt_u32_e32 vcc, 31, v32
	v_mov_b32_dpp v35, v7 row_bcast:15 row_mask:0xf bank_mask:0xf
	v_and_b32_e32 v35, v42, v35
	v_add_u32_e32 v7, v7, v35
	v_and_b32_e32 v42, 64, v32
	s_nop 0
	v_mov_b32_dpp v35, v7 row_bcast:31 row_mask:0xf bank_mask:0xf
	v_cndmask_b32_e32 v35, 0, v35, vcc
	v_add_u32_e32 v7, v7, v35
	v_add_u32_e32 v35, -1, v32
	v_cmp_lt_i32_e32 vcc, v35, v42
	v_cndmask_b32_e32 v32, v35, v32, vcc
	v_lshlrev_b32_e32 v32, 2, v32
	ds_bpermute_b32 v7, v32, v7
	s_waitcnt lgkmcnt(0)
	v_add_u32_e32 v7, v7, v8
	v_cndmask_b32_e64 v6, v7, v6, s[6:7]
	v_add_u32_e32 v7, v6, v9
	ds_write2_b32 v26, v6, v7 offset1:1
	v_add_u32_e32 v6, v7, v10
	v_add_u32_e32 v7, v6, v11
	ds_write2_b32 v26, v6, v7 offset0:2 offset1:3
	v_add_u32_e32 v6, v7, v22
	v_add_u32_e32 v7, v6, v23
	ds_write2_b32 v26, v6, v7 offset0:4 offset1:5
	;; [unrolled: 3-line block ×7, first 2 shown]
.LBB12_42:
	s_or_b64 exec, exec, s[20:21]
	v_add_u32_e32 v31, 0x280, v3
	v_add_u32_e32 v3, -1, v40
	v_add_u32_e32 v29, 0x280, v4
	v_lshrrev_b32_e32 v4, 5, v3
	v_add_u32_e32 v3, v4, v3
	v_add_u32_e32 v30, 0x280, v5
	v_lshl_add_u32 v32, v3, 2, v2
	v_mov_b32_e32 v2, 0
	v_mov_b32_e32 v3, 0
	s_waitcnt lgkmcnt(0)
	s_barrier
	s_and_saveexec_b64 s[20:21], s[8:9]
	s_cbranch_execz .LBB12_44
; %bb.43:
	ds_read_b32 v3, v32
.LBB12_44:
	s_or_b64 exec, exec, s[20:21]
	s_waitcnt lgkmcnt(0)
	v_add_u32_e32 v0, v3, v0
	v_add_u32_e32 v1, v0, v1
	s_barrier
	ds_write2_b32 v31, v0, v1 offset1:1
	s_waitcnt lgkmcnt(0)
	s_barrier
	ds_read_b32 v0, v29
	ds_read_b32 v1, v30 offset:4096
	s_waitcnt lgkmcnt(1)
	flat_store_dword v[12:13], v0
	s_waitcnt vmcnt(0) lgkmcnt(0)
	flat_store_dword v[14:15], v1
	s_waitcnt vmcnt(0) lgkmcnt(0)
	s_barrier
	ds_read_b32 v0, v2 offset:12
	v_add_u32_e32 v28, 0x237c, v34
	v_lshlrev_b32_e32 v1, 21, v40
	s_lshl_b32 s38, s43, 21
	s_mov_b64 s[36:37], 0
	s_movk_i32 s39, 0x7ff
	v_mov_b32_e32 v3, v28
	v_mov_b32_e32 v4, v40
	s_branch .LBB12_46
.LBB12_45:                              ;   in Loop: Header=BB12_46 Depth=1
	s_or_b64 exec, exec, s[20:21]
	v_add_u32_e32 v4, s43, v4
	v_cmp_lt_u32_e32 vcc, s39, v4
	v_add_u32_e32 v3, s44, v3
	s_or_b64 s[36:37], vcc, s[36:37]
	v_add_u32_e32 v1, s38, v1
	s_andn2_b64 exec, exec, s[36:37]
	s_cbranch_execz .LBB12_50
.LBB12_46:                              ; =>This Inner Loop Header: Depth=1
	v_cmp_ne_u32_e32 vcc, 0, v4
	v_mov_b32_e32 v5, 0
	s_and_saveexec_b64 s[20:21], vcc
	s_cbranch_execz .LBB12_48
; %bb.47:                               ;   in Loop: Header=BB12_46 Depth=1
	ds_read_b32 v5, v3
.LBB12_48:                              ;   in Loop: Header=BB12_46 Depth=1
	s_or_b64 exec, exec, s[20:21]
	ds_read_b32 v6, v3 offset:4
	s_waitcnt lgkmcnt(1)
	v_cmp_gt_i32_e32 vcc, s40, v5
	s_waitcnt lgkmcnt(0)
	v_cmp_le_i32_e64 s[20:21], s40, v6
	s_and_b64 s[54:55], vcc, s[20:21]
	s_and_saveexec_b64 s[20:21], s[54:55]
	s_cbranch_execz .LBB12_45
; %bb.49:                               ;   in Loop: Header=BB12_46 Depth=1
	v_sub_u32_e32 v7, v6, v5
	v_sub_u32_e32 v6, s40, v5
	v_or_b32_e32 v0, v0, v1
	ds_write_b64 v2, v[6:7]
	ds_write_b32 v2, v0 offset:12
	s_branch .LBB12_45
.LBB12_50:
	s_or_b64 exec, exec, s[36:37]
	s_and_saveexec_b64 s[20:21], s[6:7]
	s_cbranch_execz .LBB12_52
; %bb.51:
	v_mov_b32_e32 v0, 0
	ds_read_b32 v1, v0 offset:4
	s_waitcnt lgkmcnt(0)
	ds_write_b32 v0, v1 offset:8
.LBB12_52:
	s_or_b64 exec, exec, s[20:21]
	v_mov_b32_e32 v0, 0
	s_waitcnt lgkmcnt(0)
	s_barrier
	ds_read_b64 v[22:23], v0
	s_mov_b32 s20, 0
	s_waitcnt lgkmcnt(0)
	v_cmp_eq_u32_e32 vcc, v23, v22
	s_cbranch_vccnz .LBB12_217
; %bb.53:
	s_mov_b64 s[36:37], -1
	v_mov_b32_e32 v0, v40
	v_mov_b32_e32 v1, v34
	s_and_saveexec_b64 s[20:21], s[30:31]
	s_cbranch_execz .LBB12_64
; %bb.54:
	v_add_u32_e32 v1, -1, v33
	v_lshrrev_b32_e32 v0, 1, v1
	v_add_u32_e32 v0, 1, v0
	v_cmp_lt_u32_e32 vcc, 13, v1
	v_mov_b32_e32 v4, 0
	s_and_saveexec_b64 s[36:37], vcc
	s_cbranch_execz .LBB12_58
; %bb.55:
	v_and_b32_e32 v1, -8, v0
	v_add_u32_e32 v2, 0x2380, v34
	s_mov_b32 s54, 0
	s_mov_b64 s[38:39], 0
	v_mov_b32_e32 v3, 0
.LBB12_56:                              ; =>This Inner Loop Header: Depth=1
	v_add_u32_e32 v1, -8, v1
	s_add_i32 s54, s54, 16
	v_cmp_eq_u32_e32 vcc, 0, v1
	ds_write2_b32 v2, v3, v3 offset1:1
	ds_write2_b32 v2, v3, v3 offset0:2 offset1:3
	ds_write2_b32 v2, v3, v3 offset0:4 offset1:5
	;; [unrolled: 1-line block ×7, first 2 shown]
	v_add_u32_e32 v2, 64, v2
	s_or_b64 s[38:39], vcc, s[38:39]
	v_mov_b32_e32 v4, s54
	s_andn2_b64 exec, exec, s[38:39]
	s_cbranch_execnz .LBB12_56
; %bb.57:
	s_or_b64 exec, exec, s[38:39]
.LBB12_58:
	s_or_b64 exec, exec, s[36:37]
	v_and_b32_e32 v0, 7, v0
	v_cmp_ne_u32_e32 vcc, 0, v0
	s_and_saveexec_b64 s[36:37], vcc
	s_cbranch_execz .LBB12_61
; %bb.59:
	v_lshlrev_b32_e32 v1, 2, v4
	s_movk_i32 s38, 0x2380
	v_add3_u32 v1, v1, v34, s38
	s_mov_b64 s[38:39], 0
	v_mov_b32_e32 v2, 0
.LBB12_60:                              ; =>This Inner Loop Header: Depth=1
	v_add_u32_e32 v0, -1, v0
	v_cmp_eq_u32_e32 vcc, 0, v0
	ds_write2_b32 v1, v2, v2 offset1:1
	s_or_b64 s[38:39], vcc, s[38:39]
	v_add_u32_e32 v1, 8, v1
	s_andn2_b64 exec, exec, s[38:39]
	s_cbranch_execnz .LBB12_60
.LBB12_61:
	s_or_b64 exec, exec, s[36:37]
	v_and_b32_e32 v2, -2, v27
	v_cmp_ne_u32_e32 vcc, v27, v2
	s_mov_b64 s[36:37], 0
                                        ; implicit-def: $vgpr0
                                        ; implicit-def: $vgpr1
	s_and_saveexec_b64 s[38:39], vcc
; %bb.62:
	v_add_u32_e32 v0, v40, v2
	s_mov_b64 s[36:37], exec
	v_lshlrev_b32_e32 v1, 2, v0
; %bb.63:
	s_or_b64 exec, exec, s[38:39]
	s_orn2_b64 s[36:37], s[36:37], exec
.LBB12_64:
	s_or_b64 exec, exec, s[20:21]
	s_and_saveexec_b64 s[20:21], s[36:37]
	s_cbranch_execz .LBB12_67
; %bb.65:
	v_add_u32_e32 v1, 0x2380, v1
	s_mov_b64 s[36:37], 0
	v_mov_b32_e32 v2, 0
	s_movk_i32 s38, 0x7ff
.LBB12_66:                              ; =>This Inner Loop Header: Depth=1
	v_add_u32_e32 v0, s43, v0
	v_cmp_lt_u32_e32 vcc, s38, v0
	ds_write_b32 v1, v2
	s_or_b64 s[36:37], vcc, s[36:37]
	v_add_u32_e32 v1, s44, v1
	s_andn2_b64 exec, exec, s[36:37]
	s_cbranch_execnz .LBB12_66
.LBB12_67:
	s_or_b64 exec, exec, s[20:21]
	s_and_saveexec_b64 s[20:21], s[6:7]
	s_cbranch_execz .LBB12_69
; %bb.68:
	v_mov_b32_e32 v0, 0
	ds_write_b32 v0, v0 offset:128
.LBB12_69:
	s_or_b64 exec, exec, s[20:21]
	v_mov_b32_e32 v0, 0
	s_waitcnt lgkmcnt(0)
	s_barrier
	ds_read_b32 v23, v0 offset:12
	v_mov_b32_e32 v24, v40
	s_and_saveexec_b64 s[20:21], s[18:19]
	s_cbranch_execz .LBB12_105
; %bb.70:
	s_mov_b64 s[36:37], 0
	v_mov_b32_e32 v35, s48
	v_mov_b32_e32 v36, s52
	v_bfrev_b32_e32 v37, -2
	v_mov_b32_e32 v38, 1
	v_mov_b32_e32 v39, s53
	v_pk_mov_b32 v[8:9], v[16:17], v[16:17] op_sel:[0,1]
	v_pk_mov_b32 v[24:25], v[40:41], v[40:41] op_sel:[0,1]
	s_branch .LBB12_72
.LBB12_71:                              ;   in Loop: Header=BB12_72 Depth=1
	s_or_b64 exec, exec, s[38:39]
	v_add_u32_e32 v24, s44, v24
	v_ashrrev_i32_e32 v25, 31, v24
	v_add_co_u32_e32 v8, vcc, s49, v24
	v_addc_co_u32_e32 v9, vcc, 0, v25, vcc
	v_cmp_le_u64_e32 vcc, s[26:27], v[8:9]
	s_or_b64 s[36:37], vcc, s[36:37]
	s_andn2_b64 exec, exec, s[36:37]
	s_cbranch_execz .LBB12_104
.LBB12_72:                              ; =>This Inner Loop Header: Depth=1
	v_lshlrev_b64 v[10:11], 4, v[24:25]
	v_add_co_u32_e32 v0, vcc, s47, v10
	v_addc_co_u32_e32 v1, vcc, v35, v11, vcc
	global_load_dwordx4 v[0:3], v[0:1], off
	v_add_co_u32_e32 v4, vcc, s50, v10
	v_addc_co_u32_e32 v5, vcc, v36, v11, vcc
	global_load_dwordx4 v[4:7], v[4:5], off
	s_waitcnt vmcnt(1)
	v_cmp_gt_i32_e32 vcc, 0, v0
	v_cndmask_b32_e64 v25, v37, 0, vcc
	v_xor_b32_e32 v0, v25, v0
	v_and_b32_e32 v25, 0xffe00000, v0
	s_waitcnt lgkmcnt(0)
	v_cmp_eq_u32_e32 vcc, v25, v23
	s_and_saveexec_b64 s[38:39], vcc
	s_cbranch_execz .LBB12_74
; %bb.73:                               ;   in Loop: Header=BB12_72 Depth=1
	v_lshrrev_b32_e32 v0, 8, v0
	v_and_b32_e32 v0, 0x1ffc, v0
	ds_add_u32 v0, v38 offset:9088
.LBB12_74:                              ;   in Loop: Header=BB12_72 Depth=1
	s_or_b64 exec, exec, s[38:39]
	v_cmp_gt_i32_e32 vcc, 0, v1
	v_cndmask_b32_e64 v0, v37, 0, vcc
	v_xor_b32_e32 v0, v0, v1
	v_and_b32_e32 v1, 0xffe00000, v0
	v_cmp_eq_u32_e32 vcc, v1, v23
	s_and_saveexec_b64 s[38:39], vcc
	s_cbranch_execz .LBB12_76
; %bb.75:                               ;   in Loop: Header=BB12_72 Depth=1
	v_lshrrev_b32_e32 v0, 8, v0
	v_and_b32_e32 v0, 0x1ffc, v0
	ds_add_u32 v0, v38 offset:9088
.LBB12_76:                              ;   in Loop: Header=BB12_72 Depth=1
	s_or_b64 exec, exec, s[38:39]
	v_cmp_gt_i32_e32 vcc, 0, v2
	v_cndmask_b32_e64 v0, v37, 0, vcc
	v_xor_b32_e32 v0, v0, v2
	v_and_b32_e32 v1, 0xffe00000, v0
	;; [unrolled: 13-line block ×3, first 2 shown]
	v_cmp_eq_u32_e32 vcc, v1, v23
	s_and_saveexec_b64 s[38:39], vcc
	s_cbranch_execz .LBB12_80
; %bb.79:                               ;   in Loop: Header=BB12_72 Depth=1
	v_lshrrev_b32_e32 v0, 8, v0
	v_and_b32_e32 v0, 0x1ffc, v0
	ds_add_u32 v0, v38 offset:9088
.LBB12_80:                              ;   in Loop: Header=BB12_72 Depth=1
	s_or_b64 exec, exec, s[38:39]
	v_add_co_u32_e32 v42, vcc, s51, v10
	v_addc_co_u32_e32 v43, vcc, v39, v11, vcc
	v_lshlrev_b64 v[0:1], 4, v[8:9]
	v_add_co_u32_e32 v44, vcc, s47, v0
	v_addc_co_u32_e32 v45, vcc, v35, v1, vcc
	global_load_dwordx4 v[8:11], v[42:43], off
	global_load_dwordx4 v[0:3], v[44:45], off
	s_waitcnt vmcnt(2)
	v_cmp_gt_i32_e32 vcc, 0, v4
	v_cndmask_b32_e64 v25, v37, 0, vcc
	v_xor_b32_e32 v4, v25, v4
	v_and_b32_e32 v25, 0xffe00000, v4
	v_cmp_eq_u32_e32 vcc, v25, v23
	s_and_saveexec_b64 s[38:39], vcc
	s_cbranch_execz .LBB12_82
; %bb.81:                               ;   in Loop: Header=BB12_72 Depth=1
	v_lshrrev_b32_e32 v4, 8, v4
	v_and_b32_e32 v4, 0x1ffc, v4
	ds_add_u32 v4, v38 offset:9088
.LBB12_82:                              ;   in Loop: Header=BB12_72 Depth=1
	s_or_b64 exec, exec, s[38:39]
	v_cmp_gt_i32_e32 vcc, 0, v5
	v_cndmask_b32_e64 v4, v37, 0, vcc
	v_xor_b32_e32 v4, v4, v5
	v_and_b32_e32 v5, 0xffe00000, v4
	v_cmp_eq_u32_e32 vcc, v5, v23
	s_and_saveexec_b64 s[38:39], vcc
	s_cbranch_execz .LBB12_84
; %bb.83:                               ;   in Loop: Header=BB12_72 Depth=1
	v_lshrrev_b32_e32 v4, 8, v4
	v_and_b32_e32 v4, 0x1ffc, v4
	ds_add_u32 v4, v38 offset:9088
.LBB12_84:                              ;   in Loop: Header=BB12_72 Depth=1
	s_or_b64 exec, exec, s[38:39]
	;; [unrolled: 13-line block ×4, first 2 shown]
	s_waitcnt vmcnt(1)
	v_cmp_gt_i32_e32 vcc, 0, v8
	v_cndmask_b32_e64 v4, v37, 0, vcc
	v_xor_b32_e32 v4, v4, v8
	v_and_b32_e32 v5, 0xffe00000, v4
	v_cmp_eq_u32_e32 vcc, v5, v23
	s_and_saveexec_b64 s[38:39], vcc
	s_cbranch_execz .LBB12_90
; %bb.89:                               ;   in Loop: Header=BB12_72 Depth=1
	v_lshrrev_b32_e32 v4, 8, v4
	v_and_b32_e32 v4, 0x1ffc, v4
	ds_add_u32 v4, v38 offset:9088
.LBB12_90:                              ;   in Loop: Header=BB12_72 Depth=1
	s_or_b64 exec, exec, s[38:39]
	v_cmp_gt_i32_e32 vcc, 0, v9
	v_cndmask_b32_e64 v4, v37, 0, vcc
	v_xor_b32_e32 v4, v4, v9
	v_and_b32_e32 v5, 0xffe00000, v4
	v_cmp_eq_u32_e32 vcc, v5, v23
	s_and_saveexec_b64 s[38:39], vcc
	s_cbranch_execz .LBB12_92
; %bb.91:                               ;   in Loop: Header=BB12_72 Depth=1
	v_lshrrev_b32_e32 v4, 8, v4
	v_and_b32_e32 v4, 0x1ffc, v4
	ds_add_u32 v4, v38 offset:9088
.LBB12_92:                              ;   in Loop: Header=BB12_72 Depth=1
	s_or_b64 exec, exec, s[38:39]
	;; [unrolled: 13-line block ×4, first 2 shown]
	s_waitcnt vmcnt(0)
	v_cmp_gt_i32_e32 vcc, 0, v0
	v_cndmask_b32_e64 v4, v37, 0, vcc
	v_xor_b32_e32 v0, v4, v0
	v_and_b32_e32 v4, 0xffe00000, v0
	v_cmp_eq_u32_e32 vcc, v4, v23
	s_and_saveexec_b64 s[38:39], vcc
	s_cbranch_execz .LBB12_98
; %bb.97:                               ;   in Loop: Header=BB12_72 Depth=1
	v_lshrrev_b32_e32 v0, 8, v0
	v_and_b32_e32 v0, 0x1ffc, v0
	ds_add_u32 v0, v38 offset:9088
.LBB12_98:                              ;   in Loop: Header=BB12_72 Depth=1
	s_or_b64 exec, exec, s[38:39]
	v_cmp_gt_i32_e32 vcc, 0, v1
	v_cndmask_b32_e64 v0, v37, 0, vcc
	v_xor_b32_e32 v0, v0, v1
	v_and_b32_e32 v1, 0xffe00000, v0
	v_cmp_eq_u32_e32 vcc, v1, v23
	s_and_saveexec_b64 s[38:39], vcc
	s_cbranch_execz .LBB12_100
; %bb.99:                               ;   in Loop: Header=BB12_72 Depth=1
	v_lshrrev_b32_e32 v0, 8, v0
	v_and_b32_e32 v0, 0x1ffc, v0
	ds_add_u32 v0, v38 offset:9088
.LBB12_100:                             ;   in Loop: Header=BB12_72 Depth=1
	s_or_b64 exec, exec, s[38:39]
	v_cmp_gt_i32_e32 vcc, 0, v2
	v_cndmask_b32_e64 v0, v37, 0, vcc
	v_xor_b32_e32 v0, v0, v2
	v_and_b32_e32 v1, 0xffe00000, v0
	v_cmp_eq_u32_e32 vcc, v1, v23
	s_and_saveexec_b64 s[38:39], vcc
	s_cbranch_execz .LBB12_102
; %bb.101:                              ;   in Loop: Header=BB12_72 Depth=1
	v_lshrrev_b32_e32 v0, 8, v0
	v_and_b32_e32 v0, 0x1ffc, v0
	ds_add_u32 v0, v38 offset:9088
.LBB12_102:                             ;   in Loop: Header=BB12_72 Depth=1
	s_or_b64 exec, exec, s[38:39]
	v_cmp_gt_i32_e32 vcc, 0, v3
	v_cndmask_b32_e64 v0, v37, 0, vcc
	v_xor_b32_e32 v0, v0, v3
	v_and_b32_e32 v1, 0xffe00000, v0
	v_cmp_eq_u32_e32 vcc, v1, v23
	s_and_saveexec_b64 s[38:39], vcc
	s_cbranch_execz .LBB12_71
; %bb.103:                              ;   in Loop: Header=BB12_72 Depth=1
	v_lshrrev_b32_e32 v0, 8, v0
	v_and_b32_e32 v0, 0x1ffc, v0
	ds_add_u32 v0, v38 offset:9088
	s_branch .LBB12_71
.LBB12_104:
	s_or_b64 exec, exec, s[36:37]
.LBB12_105:
	s_or_b64 exec, exec, s[20:21]
	v_cmp_gt_i32_e32 vcc, s26, v24
	s_and_saveexec_b64 s[20:21], vcc
	s_cbranch_execz .LBB12_116
; %bb.106:
	s_mov_b64 s[36:37], 0
	v_mov_b32_e32 v4, s48
	v_bfrev_b32_e32 v5, -2
	v_mov_b32_e32 v6, 1
	s_branch .LBB12_108
.LBB12_107:                             ;   in Loop: Header=BB12_108 Depth=1
	s_or_b64 exec, exec, s[38:39]
	v_add_u32_e32 v24, s43, v24
	v_cmp_le_i32_e32 vcc, s26, v24
	s_or_b64 s[36:37], vcc, s[36:37]
	s_andn2_b64 exec, exec, s[36:37]
	s_cbranch_execz .LBB12_116
.LBB12_108:                             ; =>This Inner Loop Header: Depth=1
	v_ashrrev_i32_e32 v25, 31, v24
	v_lshlrev_b64 v[0:1], 4, v[24:25]
	v_add_co_u32_e32 v0, vcc, s47, v0
	v_addc_co_u32_e32 v1, vcc, v4, v1, vcc
	global_load_dwordx4 v[0:3], v[0:1], off
	s_waitcnt vmcnt(0)
	v_cmp_gt_i32_e32 vcc, 0, v0
	v_cndmask_b32_e64 v7, v5, 0, vcc
	v_xor_b32_e32 v0, v7, v0
	v_and_b32_e32 v7, 0xffe00000, v0
	s_waitcnt lgkmcnt(0)
	v_cmp_eq_u32_e32 vcc, v7, v23
	s_and_saveexec_b64 s[38:39], vcc
	s_cbranch_execz .LBB12_110
; %bb.109:                              ;   in Loop: Header=BB12_108 Depth=1
	v_lshrrev_b32_e32 v0, 8, v0
	v_and_b32_e32 v0, 0x1ffc, v0
	ds_add_u32 v0, v6 offset:9088
.LBB12_110:                             ;   in Loop: Header=BB12_108 Depth=1
	s_or_b64 exec, exec, s[38:39]
	v_cmp_gt_i32_e32 vcc, 0, v1
	v_cndmask_b32_e64 v0, v5, 0, vcc
	v_xor_b32_e32 v0, v0, v1
	v_and_b32_e32 v1, 0xffe00000, v0
	v_cmp_eq_u32_e32 vcc, v1, v23
	s_and_saveexec_b64 s[38:39], vcc
	s_cbranch_execz .LBB12_112
; %bb.111:                              ;   in Loop: Header=BB12_108 Depth=1
	v_lshrrev_b32_e32 v0, 8, v0
	v_and_b32_e32 v0, 0x1ffc, v0
	ds_add_u32 v0, v6 offset:9088
.LBB12_112:                             ;   in Loop: Header=BB12_108 Depth=1
	s_or_b64 exec, exec, s[38:39]
	v_cmp_gt_i32_e32 vcc, 0, v2
	v_cndmask_b32_e64 v0, v5, 0, vcc
	v_xor_b32_e32 v0, v0, v2
	v_and_b32_e32 v1, 0xffe00000, v0
	;; [unrolled: 13-line block ×3, first 2 shown]
	v_cmp_eq_u32_e32 vcc, v1, v23
	s_and_saveexec_b64 s[38:39], vcc
	s_cbranch_execz .LBB12_107
; %bb.115:                              ;   in Loop: Header=BB12_108 Depth=1
	v_lshrrev_b32_e32 v0, 8, v0
	v_and_b32_e32 v0, 0x1ffc, v0
	ds_add_u32 v0, v6 offset:9088
	s_branch .LBB12_107
.LBB12_116:
	s_or_b64 exec, exec, s[20:21]
	s_and_saveexec_b64 s[20:21], s[10:11]
	s_cbranch_execz .LBB12_119
; %bb.117:
	global_load_dword v0, v[18:19], off
	v_bfrev_b32_e32 v1, -2
	s_waitcnt vmcnt(0)
	v_cmp_gt_i32_e32 vcc, 0, v0
	v_cndmask_b32_e64 v1, v1, 0, vcc
	v_xor_b32_e32 v0, v1, v0
	v_and_b32_e32 v1, 0xffe00000, v0
	s_waitcnt lgkmcnt(0)
	v_cmp_eq_u32_e32 vcc, v1, v23
	s_and_b64 exec, exec, vcc
	s_cbranch_execz .LBB12_119
; %bb.118:
	v_lshrrev_b32_e32 v0, 8, v0
	v_and_b32_e32 v0, 0x1ffc, v0
	v_mov_b32_e32 v1, 1
	ds_add_u32 v0, v1 offset:9088
.LBB12_119:
	s_or_b64 exec, exec, s[20:21]
	s_and_saveexec_b64 s[20:21], s[14:15]
	s_cbranch_execz .LBB12_122
; %bb.120:
	global_load_dword v0, v[20:21], off
	v_bfrev_b32_e32 v1, -2
	s_waitcnt vmcnt(0)
	v_cmp_gt_i32_e32 vcc, 0, v0
	v_cndmask_b32_e64 v1, v1, 0, vcc
	v_xor_b32_e32 v0, v1, v0
	v_and_b32_e32 v1, 0xffe00000, v0
	s_waitcnt lgkmcnt(0)
	v_cmp_eq_u32_e32 vcc, v1, v23
	s_and_b64 exec, exec, vcc
	s_cbranch_execz .LBB12_122
; %bb.121:
	v_lshrrev_b32_e32 v0, 8, v0
	v_and_b32_e32 v0, 0x1ffc, v0
	v_mov_b32_e32 v1, 1
	ds_add_u32 v0, v1 offset:9088
.LBB12_122:
	s_or_b64 exec, exec, s[20:21]
	s_waitcnt lgkmcnt(0)
	s_barrier
	flat_load_dword v0, v[12:13] glc
	s_waitcnt vmcnt(0)
	flat_load_dword v1, v[14:15] glc
	s_waitcnt vmcnt(0) lgkmcnt(0)
	ds_write_b32 v29, v0
	ds_write_b32 v30, v1 offset:4096
	s_waitcnt lgkmcnt(0)
	s_barrier
	ds_read2_b32 v[0:1], v31 offset1:1
	s_waitcnt lgkmcnt(0)
	s_barrier
	v_add_u32_e32 v2, v1, v0
	ds_write_b32 v29, v2
	s_waitcnt lgkmcnt(0)
	s_barrier
	s_and_saveexec_b64 s[20:21], s[16:17]
	s_cbranch_execz .LBB12_124
; %bb.123:
	ds_read2_b32 v[4:5], v26 offset1:1
	ds_read2_b32 v[6:7], v26 offset0:2 offset1:3
	ds_read2_b32 v[8:9], v26 offset0:4 offset1:5
	;; [unrolled: 1-line block ×7, first 2 shown]
	s_waitcnt lgkmcnt(7)
	v_add_u32_e32 v3, v5, v4
	s_waitcnt lgkmcnt(6)
	v_add3_u32 v3, v3, v6, v7
	s_waitcnt lgkmcnt(5)
	v_add3_u32 v3, v3, v8, v9
	;; [unrolled: 2-line block ×5, first 2 shown]
	v_mbcnt_lo_u32_b32 v23, -1, 0
	s_waitcnt lgkmcnt(1)
	v_add3_u32 v3, v3, v38, v39
	v_mbcnt_hi_u32_b32 v23, -1, v23
	s_waitcnt lgkmcnt(0)
	v_add3_u32 v3, v3, v42, v43
	v_and_b32_e32 v35, 15, v23
	v_cmp_ne_u32_e32 vcc, 0, v35
	v_mov_b32_dpp v44, v3 row_shr:1 row_mask:0xf bank_mask:0xf
	v_cndmask_b32_e32 v44, 0, v44, vcc
	v_add_u32_e32 v3, v44, v3
	v_cmp_lt_u32_e32 vcc, 1, v35
	s_nop 0
	v_mov_b32_dpp v44, v3 row_shr:2 row_mask:0xf bank_mask:0xf
	v_cndmask_b32_e32 v44, 0, v44, vcc
	v_add_u32_e32 v3, v3, v44
	v_cmp_lt_u32_e32 vcc, 3, v35
	s_nop 0
	;; [unrolled: 5-line block ×3, first 2 shown]
	v_mov_b32_dpp v44, v3 row_shr:8 row_mask:0xf bank_mask:0xf
	v_cndmask_b32_e32 v35, 0, v44, vcc
	v_add_u32_e32 v3, v3, v35
	v_bfe_i32 v44, v23, 4, 1
	v_cmp_lt_u32_e32 vcc, 31, v23
	v_mov_b32_dpp v35, v3 row_bcast:15 row_mask:0xf bank_mask:0xf
	v_and_b32_e32 v35, v44, v35
	v_add_u32_e32 v3, v3, v35
	v_and_b32_e32 v44, 64, v23
	s_nop 0
	v_mov_b32_dpp v35, v3 row_bcast:31 row_mask:0xf bank_mask:0xf
	v_cndmask_b32_e32 v35, 0, v35, vcc
	v_add_u32_e32 v3, v3, v35
	v_add_u32_e32 v35, -1, v23
	v_cmp_lt_i32_e32 vcc, v35, v44
	v_cndmask_b32_e32 v23, v35, v23, vcc
	v_lshlrev_b32_e32 v23, 2, v23
	ds_bpermute_b32 v3, v23, v3
	s_waitcnt lgkmcnt(0)
	v_add_u32_e32 v3, v3, v4
	v_cndmask_b32_e64 v2, v3, v2, s[6:7]
	v_add_u32_e32 v3, v2, v5
	ds_write2_b32 v26, v2, v3 offset1:1
	v_add_u32_e32 v2, v3, v6
	v_add_u32_e32 v3, v2, v7
	ds_write2_b32 v26, v2, v3 offset0:2 offset1:3
	v_add_u32_e32 v2, v3, v8
	v_add_u32_e32 v3, v2, v9
	ds_write2_b32 v26, v2, v3 offset0:4 offset1:5
	;; [unrolled: 3-line block ×7, first 2 shown]
.LBB12_124:
	s_or_b64 exec, exec, s[20:21]
	v_mov_b32_e32 v2, 0
	v_mov_b32_e32 v3, 0
	s_waitcnt lgkmcnt(0)
	s_barrier
	s_and_saveexec_b64 s[20:21], s[8:9]
	s_cbranch_execz .LBB12_126
; %bb.125:
	ds_read_b32 v3, v32
.LBB12_126:
	s_or_b64 exec, exec, s[20:21]
	s_waitcnt lgkmcnt(0)
	v_add_u32_e32 v0, v3, v0
	v_add_u32_e32 v1, v0, v1
	s_barrier
	ds_write2_b32 v31, v0, v1 offset1:1
	s_waitcnt lgkmcnt(0)
	s_barrier
	ds_read_b32 v0, v29
	ds_read_b32 v1, v30 offset:4096
	s_waitcnt lgkmcnt(1)
	flat_store_dword v[12:13], v0
	s_waitcnt vmcnt(0) lgkmcnt(0)
	flat_store_dword v[14:15], v1
	s_waitcnt vmcnt(0) lgkmcnt(0)
	s_barrier
	ds_read_b32 v0, v2 offset:12
	v_lshlrev_b32_e32 v1, 10, v40
	s_lshl_b32 s38, s43, 10
	s_mov_b64 s[36:37], 0
	s_movk_i32 s39, 0x7ff
	v_mov_b32_e32 v3, v28
	v_mov_b32_e32 v4, v40
	s_branch .LBB12_128
.LBB12_127:                             ;   in Loop: Header=BB12_128 Depth=1
	s_or_b64 exec, exec, s[20:21]
	v_add_u32_e32 v4, s43, v4
	v_cmp_lt_u32_e32 vcc, s39, v4
	v_add_u32_e32 v1, s38, v1
	s_or_b64 s[36:37], vcc, s[36:37]
	v_add_u32_e32 v3, s44, v3
	s_andn2_b64 exec, exec, s[36:37]
	s_cbranch_execz .LBB12_132
.LBB12_128:                             ; =>This Inner Loop Header: Depth=1
	v_cmp_ne_u32_e32 vcc, 0, v4
	v_mov_b32_e32 v5, 0
	s_and_saveexec_b64 s[20:21], vcc
	s_cbranch_execz .LBB12_130
; %bb.129:                              ;   in Loop: Header=BB12_128 Depth=1
	ds_read_b32 v5, v3
.LBB12_130:                             ;   in Loop: Header=BB12_128 Depth=1
	s_or_b64 exec, exec, s[20:21]
	ds_read_b32 v6, v3 offset:4
	s_waitcnt lgkmcnt(1)
	v_cmp_lt_i32_e32 vcc, v5, v22
	s_waitcnt lgkmcnt(0)
	v_cmp_ge_i32_e64 s[20:21], v6, v22
	s_and_b64 s[54:55], vcc, s[20:21]
	s_and_saveexec_b64 s[20:21], s[54:55]
	s_cbranch_execz .LBB12_127
; %bb.131:                              ;   in Loop: Header=BB12_128 Depth=1
	v_sub_u32_e32 v7, v6, v5
	v_sub_u32_e32 v6, v22, v5
	v_or_b32_e32 v0, v0, v1
	ds_write_b64 v2, v[6:7]
	ds_write_b32 v2, v0 offset:12
	s_branch .LBB12_127
.LBB12_132:
	s_or_b64 exec, exec, s[36:37]
	s_and_saveexec_b64 s[20:21], s[6:7]
	s_cbranch_execz .LBB12_134
; %bb.133:
	v_mov_b32_e32 v0, 0
	ds_read_b32 v1, v0 offset:4
	s_waitcnt lgkmcnt(0)
	ds_write_b32 v0, v1 offset:8
.LBB12_134:
	s_or_b64 exec, exec, s[20:21]
	v_mov_b32_e32 v0, 0
	s_waitcnt lgkmcnt(0)
	s_barrier
	ds_read_b64 v[22:23], v0
	s_mov_b32 s20, 1
	s_waitcnt lgkmcnt(0)
	v_cmp_eq_u32_e32 vcc, v23, v22
	s_cbranch_vccnz .LBB12_217
; %bb.135:
	s_mov_b64 s[36:37], -1
	v_mov_b32_e32 v0, v40
	s_and_saveexec_b64 s[20:21], s[30:31]
	s_cbranch_execz .LBB12_146
; %bb.136:
	v_add_u32_e32 v1, -1, v33
	v_lshrrev_b32_e32 v0, 1, v1
	v_add_u32_e32 v0, 1, v0
	v_cmp_lt_u32_e32 vcc, 13, v1
	v_mov_b32_e32 v4, 0
	s_and_saveexec_b64 s[30:31], vcc
	s_cbranch_execz .LBB12_140
; %bb.137:
	v_and_b32_e32 v1, -8, v0
	v_add_u32_e32 v2, 0x2380, v34
	s_mov_b32 s38, 0
	s_mov_b64 s[36:37], 0
	v_mov_b32_e32 v3, 0
.LBB12_138:                             ; =>This Inner Loop Header: Depth=1
	v_add_u32_e32 v1, -8, v1
	s_add_i32 s38, s38, 16
	v_cmp_eq_u32_e32 vcc, 0, v1
	ds_write2_b32 v2, v3, v3 offset1:1
	ds_write2_b32 v2, v3, v3 offset0:2 offset1:3
	ds_write2_b32 v2, v3, v3 offset0:4 offset1:5
	;; [unrolled: 1-line block ×7, first 2 shown]
	v_add_u32_e32 v2, 64, v2
	s_or_b64 s[36:37], vcc, s[36:37]
	v_mov_b32_e32 v4, s38
	s_andn2_b64 exec, exec, s[36:37]
	s_cbranch_execnz .LBB12_138
; %bb.139:
	s_or_b64 exec, exec, s[36:37]
.LBB12_140:
	s_or_b64 exec, exec, s[30:31]
	v_and_b32_e32 v0, 7, v0
	v_cmp_ne_u32_e32 vcc, 0, v0
	s_and_saveexec_b64 s[30:31], vcc
	s_cbranch_execz .LBB12_143
; %bb.141:
	v_lshlrev_b32_e32 v1, 2, v4
	s_movk_i32 s36, 0x2380
	v_add3_u32 v1, v1, v34, s36
	s_mov_b64 s[36:37], 0
	v_mov_b32_e32 v2, 0
.LBB12_142:                             ; =>This Inner Loop Header: Depth=1
	v_add_u32_e32 v0, -1, v0
	v_cmp_eq_u32_e32 vcc, 0, v0
	ds_write2_b32 v1, v2, v2 offset1:1
	s_or_b64 s[36:37], vcc, s[36:37]
	v_add_u32_e32 v1, 8, v1
	s_andn2_b64 exec, exec, s[36:37]
	s_cbranch_execnz .LBB12_142
.LBB12_143:
	s_or_b64 exec, exec, s[30:31]
	v_and_b32_e32 v1, -2, v27
	v_cmp_ne_u32_e32 vcc, v27, v1
	s_mov_b64 s[30:31], 0
                                        ; implicit-def: $vgpr0
                                        ; implicit-def: $vgpr34
	s_and_saveexec_b64 s[36:37], vcc
; %bb.144:
	v_add_u32_e32 v0, v40, v1
	s_mov_b64 s[30:31], exec
	v_lshlrev_b32_e32 v34, 2, v0
; %bb.145:
	s_or_b64 exec, exec, s[36:37]
	s_orn2_b64 s[36:37], s[30:31], exec
.LBB12_146:
	s_or_b64 exec, exec, s[20:21]
	s_and_saveexec_b64 s[20:21], s[36:37]
	s_cbranch_execz .LBB12_149
; %bb.147:
	v_add_u32_e32 v1, 0x2380, v34
	s_mov_b64 s[30:31], 0
	v_mov_b32_e32 v2, 0
	s_movk_i32 s36, 0x7ff
.LBB12_148:                             ; =>This Inner Loop Header: Depth=1
	v_add_u32_e32 v0, s43, v0
	v_cmp_lt_u32_e32 vcc, s36, v0
	ds_write_b32 v1, v2
	s_or_b64 s[30:31], vcc, s[30:31]
	v_add_u32_e32 v1, s44, v1
	s_andn2_b64 exec, exec, s[30:31]
	s_cbranch_execnz .LBB12_148
.LBB12_149:
	s_or_b64 exec, exec, s[20:21]
	s_and_saveexec_b64 s[20:21], s[6:7]
	s_cbranch_execz .LBB12_151
; %bb.150:
	v_mov_b32_e32 v0, 0
	ds_write_b32 v0, v0 offset:128
.LBB12_151:
	s_or_b64 exec, exec, s[20:21]
	v_mov_b32_e32 v0, 0
	s_waitcnt lgkmcnt(0)
	s_barrier
	ds_read_b32 v23, v0 offset:12
	v_mov_b32_e32 v24, v40
	s_and_saveexec_b64 s[20:21], s[18:19]
	s_cbranch_execz .LBB12_187
; %bb.152:
	s_mov_b64 s[18:19], 0
	v_mov_b32_e32 v27, s48
	v_mov_b32_e32 v33, s52
	v_bfrev_b32_e32 v34, -2
	v_mov_b32_e32 v35, 1
	v_mov_b32_e32 v36, s53
	v_pk_mov_b32 v[24:25], v[40:41], v[40:41] op_sel:[0,1]
	s_branch .LBB12_154
.LBB12_153:                             ;   in Loop: Header=BB12_154 Depth=1
	s_or_b64 exec, exec, s[30:31]
	v_add_u32_e32 v24, s44, v24
	v_ashrrev_i32_e32 v25, 31, v24
	v_add_co_u32_e32 v16, vcc, s49, v24
	v_addc_co_u32_e32 v17, vcc, 0, v25, vcc
	v_cmp_le_u64_e32 vcc, s[26:27], v[16:17]
	s_or_b64 s[18:19], vcc, s[18:19]
	s_andn2_b64 exec, exec, s[18:19]
	s_cbranch_execz .LBB12_186
.LBB12_154:                             ; =>This Inner Loop Header: Depth=1
	v_lshlrev_b64 v[8:9], 4, v[24:25]
	v_add_co_u32_e32 v0, vcc, s47, v8
	v_addc_co_u32_e32 v1, vcc, v27, v9, vcc
	global_load_dwordx4 v[0:3], v[0:1], off
	v_add_co_u32_e32 v4, vcc, s50, v8
	v_addc_co_u32_e32 v5, vcc, v33, v9, vcc
	global_load_dwordx4 v[4:7], v[4:5], off
	s_waitcnt vmcnt(1)
	v_cmp_gt_i32_e32 vcc, 0, v0
	v_cndmask_b32_e64 v10, v34, 0, vcc
	v_xor_b32_e32 v0, v10, v0
	v_and_b32_e32 v10, 0xfffffc00, v0
	s_waitcnt lgkmcnt(0)
	v_cmp_eq_u32_e32 vcc, v10, v23
	s_and_saveexec_b64 s[30:31], vcc
	s_cbranch_execz .LBB12_156
; %bb.155:                              ;   in Loop: Header=BB12_154 Depth=1
	v_and_b32_e32 v0, 0x7ff, v0
	v_lshlrev_b32_e32 v0, 2, v0
	ds_add_u32 v0, v35 offset:9088
.LBB12_156:                             ;   in Loop: Header=BB12_154 Depth=1
	s_or_b64 exec, exec, s[30:31]
	v_cmp_gt_i32_e32 vcc, 0, v1
	v_cndmask_b32_e64 v0, v34, 0, vcc
	v_xor_b32_e32 v0, v0, v1
	v_and_b32_e32 v1, 0xfffffc00, v0
	v_cmp_eq_u32_e32 vcc, v1, v23
	s_and_saveexec_b64 s[30:31], vcc
	s_cbranch_execz .LBB12_158
; %bb.157:                              ;   in Loop: Header=BB12_154 Depth=1
	v_and_b32_e32 v0, 0x7ff, v0
	v_lshlrev_b32_e32 v0, 2, v0
	ds_add_u32 v0, v35 offset:9088
.LBB12_158:                             ;   in Loop: Header=BB12_154 Depth=1
	s_or_b64 exec, exec, s[30:31]
	v_cmp_gt_i32_e32 vcc, 0, v2
	v_cndmask_b32_e64 v0, v34, 0, vcc
	v_xor_b32_e32 v0, v0, v2
	v_and_b32_e32 v1, 0xfffffc00, v0
	;; [unrolled: 13-line block ×3, first 2 shown]
	v_cmp_eq_u32_e32 vcc, v1, v23
	s_and_saveexec_b64 s[30:31], vcc
	s_cbranch_execz .LBB12_162
; %bb.161:                              ;   in Loop: Header=BB12_154 Depth=1
	v_and_b32_e32 v0, 0x7ff, v0
	v_lshlrev_b32_e32 v0, 2, v0
	ds_add_u32 v0, v35 offset:9088
.LBB12_162:                             ;   in Loop: Header=BB12_154 Depth=1
	s_or_b64 exec, exec, s[30:31]
	v_add_co_u32_e32 v38, vcc, s51, v8
	v_addc_co_u32_e32 v39, vcc, v36, v9, vcc
	v_lshlrev_b64 v[0:1], 4, v[16:17]
	v_add_co_u32_e32 v16, vcc, s47, v0
	v_addc_co_u32_e32 v17, vcc, v27, v1, vcc
	global_load_dwordx4 v[8:11], v[38:39], off
	global_load_dwordx4 v[0:3], v[16:17], off
	s_waitcnt vmcnt(2)
	v_cmp_gt_i32_e32 vcc, 0, v4
	v_cndmask_b32_e64 v16, v34, 0, vcc
	v_xor_b32_e32 v4, v16, v4
	v_and_b32_e32 v16, 0xfffffc00, v4
	v_cmp_eq_u32_e32 vcc, v16, v23
	s_and_saveexec_b64 s[30:31], vcc
	s_cbranch_execz .LBB12_164
; %bb.163:                              ;   in Loop: Header=BB12_154 Depth=1
	v_and_b32_e32 v4, 0x7ff, v4
	v_lshlrev_b32_e32 v4, 2, v4
	ds_add_u32 v4, v35 offset:9088
.LBB12_164:                             ;   in Loop: Header=BB12_154 Depth=1
	s_or_b64 exec, exec, s[30:31]
	v_cmp_gt_i32_e32 vcc, 0, v5
	v_cndmask_b32_e64 v4, v34, 0, vcc
	v_xor_b32_e32 v4, v4, v5
	v_and_b32_e32 v5, 0xfffffc00, v4
	v_cmp_eq_u32_e32 vcc, v5, v23
	s_and_saveexec_b64 s[30:31], vcc
	s_cbranch_execz .LBB12_166
; %bb.165:                              ;   in Loop: Header=BB12_154 Depth=1
	v_and_b32_e32 v4, 0x7ff, v4
	v_lshlrev_b32_e32 v4, 2, v4
	ds_add_u32 v4, v35 offset:9088
.LBB12_166:                             ;   in Loop: Header=BB12_154 Depth=1
	s_or_b64 exec, exec, s[30:31]
	;; [unrolled: 13-line block ×4, first 2 shown]
	s_waitcnt vmcnt(1)
	v_cmp_gt_i32_e32 vcc, 0, v8
	v_cndmask_b32_e64 v4, v34, 0, vcc
	v_xor_b32_e32 v4, v4, v8
	v_and_b32_e32 v5, 0xfffffc00, v4
	v_cmp_eq_u32_e32 vcc, v5, v23
	s_and_saveexec_b64 s[30:31], vcc
	s_cbranch_execz .LBB12_172
; %bb.171:                              ;   in Loop: Header=BB12_154 Depth=1
	v_and_b32_e32 v4, 0x7ff, v4
	v_lshlrev_b32_e32 v4, 2, v4
	ds_add_u32 v4, v35 offset:9088
.LBB12_172:                             ;   in Loop: Header=BB12_154 Depth=1
	s_or_b64 exec, exec, s[30:31]
	v_cmp_gt_i32_e32 vcc, 0, v9
	v_cndmask_b32_e64 v4, v34, 0, vcc
	v_xor_b32_e32 v4, v4, v9
	v_and_b32_e32 v5, 0xfffffc00, v4
	v_cmp_eq_u32_e32 vcc, v5, v23
	s_and_saveexec_b64 s[30:31], vcc
	s_cbranch_execz .LBB12_174
; %bb.173:                              ;   in Loop: Header=BB12_154 Depth=1
	v_and_b32_e32 v4, 0x7ff, v4
	v_lshlrev_b32_e32 v4, 2, v4
	ds_add_u32 v4, v35 offset:9088
.LBB12_174:                             ;   in Loop: Header=BB12_154 Depth=1
	s_or_b64 exec, exec, s[30:31]
	;; [unrolled: 13-line block ×4, first 2 shown]
	s_waitcnt vmcnt(0)
	v_cmp_gt_i32_e32 vcc, 0, v0
	v_cndmask_b32_e64 v4, v34, 0, vcc
	v_xor_b32_e32 v0, v4, v0
	v_and_b32_e32 v4, 0xfffffc00, v0
	v_cmp_eq_u32_e32 vcc, v4, v23
	s_and_saveexec_b64 s[30:31], vcc
	s_cbranch_execz .LBB12_180
; %bb.179:                              ;   in Loop: Header=BB12_154 Depth=1
	v_and_b32_e32 v0, 0x7ff, v0
	v_lshlrev_b32_e32 v0, 2, v0
	ds_add_u32 v0, v35 offset:9088
.LBB12_180:                             ;   in Loop: Header=BB12_154 Depth=1
	s_or_b64 exec, exec, s[30:31]
	v_cmp_gt_i32_e32 vcc, 0, v1
	v_cndmask_b32_e64 v0, v34, 0, vcc
	v_xor_b32_e32 v0, v0, v1
	v_and_b32_e32 v1, 0xfffffc00, v0
	v_cmp_eq_u32_e32 vcc, v1, v23
	s_and_saveexec_b64 s[30:31], vcc
	s_cbranch_execz .LBB12_182
; %bb.181:                              ;   in Loop: Header=BB12_154 Depth=1
	v_and_b32_e32 v0, 0x7ff, v0
	v_lshlrev_b32_e32 v0, 2, v0
	ds_add_u32 v0, v35 offset:9088
.LBB12_182:                             ;   in Loop: Header=BB12_154 Depth=1
	s_or_b64 exec, exec, s[30:31]
	;; [unrolled: 13-line block ×3, first 2 shown]
	v_cmp_gt_i32_e32 vcc, 0, v3
	v_cndmask_b32_e64 v0, v34, 0, vcc
	v_xor_b32_e32 v0, v0, v3
	v_and_b32_e32 v1, 0xfffffc00, v0
	v_cmp_eq_u32_e32 vcc, v1, v23
	s_and_saveexec_b64 s[30:31], vcc
	s_cbranch_execz .LBB12_153
; %bb.185:                              ;   in Loop: Header=BB12_154 Depth=1
	v_and_b32_e32 v0, 0x7ff, v0
	v_lshlrev_b32_e32 v0, 2, v0
	ds_add_u32 v0, v35 offset:9088
	s_branch .LBB12_153
.LBB12_186:
	s_or_b64 exec, exec, s[18:19]
.LBB12_187:
	s_or_b64 exec, exec, s[20:21]
	v_cmp_gt_i32_e32 vcc, s26, v24
	s_and_saveexec_b64 s[18:19], vcc
	s_cbranch_execz .LBB12_198
; %bb.188:
	s_mov_b64 s[20:21], 0
	v_mov_b32_e32 v4, s48
	v_bfrev_b32_e32 v5, -2
	v_mov_b32_e32 v6, 1
	s_branch .LBB12_190
.LBB12_189:                             ;   in Loop: Header=BB12_190 Depth=1
	s_or_b64 exec, exec, s[30:31]
	v_add_u32_e32 v24, s43, v24
	v_cmp_le_i32_e32 vcc, s26, v24
	s_or_b64 s[20:21], vcc, s[20:21]
	s_andn2_b64 exec, exec, s[20:21]
	s_cbranch_execz .LBB12_198
.LBB12_190:                             ; =>This Inner Loop Header: Depth=1
	v_ashrrev_i32_e32 v25, 31, v24
	v_lshlrev_b64 v[0:1], 4, v[24:25]
	v_add_co_u32_e32 v0, vcc, s47, v0
	v_addc_co_u32_e32 v1, vcc, v4, v1, vcc
	global_load_dwordx4 v[0:3], v[0:1], off
	s_waitcnt vmcnt(0)
	v_cmp_gt_i32_e32 vcc, 0, v0
	v_cndmask_b32_e64 v7, v5, 0, vcc
	v_xor_b32_e32 v0, v7, v0
	v_and_b32_e32 v7, 0xfffffc00, v0
	s_waitcnt lgkmcnt(0)
	v_cmp_eq_u32_e32 vcc, v7, v23
	s_and_saveexec_b64 s[30:31], vcc
	s_cbranch_execz .LBB12_192
; %bb.191:                              ;   in Loop: Header=BB12_190 Depth=1
	v_and_b32_e32 v0, 0x7ff, v0
	v_lshlrev_b32_e32 v0, 2, v0
	ds_add_u32 v0, v6 offset:9088
.LBB12_192:                             ;   in Loop: Header=BB12_190 Depth=1
	s_or_b64 exec, exec, s[30:31]
	v_cmp_gt_i32_e32 vcc, 0, v1
	v_cndmask_b32_e64 v0, v5, 0, vcc
	v_xor_b32_e32 v0, v0, v1
	v_and_b32_e32 v1, 0xfffffc00, v0
	v_cmp_eq_u32_e32 vcc, v1, v23
	s_and_saveexec_b64 s[30:31], vcc
	s_cbranch_execz .LBB12_194
; %bb.193:                              ;   in Loop: Header=BB12_190 Depth=1
	v_and_b32_e32 v0, 0x7ff, v0
	v_lshlrev_b32_e32 v0, 2, v0
	ds_add_u32 v0, v6 offset:9088
.LBB12_194:                             ;   in Loop: Header=BB12_190 Depth=1
	s_or_b64 exec, exec, s[30:31]
	v_cmp_gt_i32_e32 vcc, 0, v2
	v_cndmask_b32_e64 v0, v5, 0, vcc
	v_xor_b32_e32 v0, v0, v2
	v_and_b32_e32 v1, 0xfffffc00, v0
	;; [unrolled: 13-line block ×3, first 2 shown]
	v_cmp_eq_u32_e32 vcc, v1, v23
	s_and_saveexec_b64 s[30:31], vcc
	s_cbranch_execz .LBB12_189
; %bb.197:                              ;   in Loop: Header=BB12_190 Depth=1
	v_and_b32_e32 v0, 0x7ff, v0
	v_lshlrev_b32_e32 v0, 2, v0
	ds_add_u32 v0, v6 offset:9088
	s_branch .LBB12_189
.LBB12_198:
	s_or_b64 exec, exec, s[18:19]
	s_and_saveexec_b64 s[18:19], s[10:11]
	s_cbranch_execz .LBB12_201
; %bb.199:
	global_load_dword v0, v[18:19], off
	v_bfrev_b32_e32 v1, -2
	s_waitcnt vmcnt(0)
	v_cmp_gt_i32_e32 vcc, 0, v0
	v_cndmask_b32_e64 v1, v1, 0, vcc
	v_xor_b32_e32 v0, v1, v0
	v_and_b32_e32 v1, 0xfffffc00, v0
	s_waitcnt lgkmcnt(0)
	v_cmp_eq_u32_e32 vcc, v1, v23
	s_and_b64 exec, exec, vcc
	s_cbranch_execz .LBB12_201
; %bb.200:
	v_and_b32_e32 v0, 0x7ff, v0
	v_lshlrev_b32_e32 v0, 2, v0
	v_mov_b32_e32 v1, 1
	ds_add_u32 v0, v1 offset:9088
.LBB12_201:
	s_or_b64 exec, exec, s[18:19]
	s_and_saveexec_b64 s[10:11], s[14:15]
	s_cbranch_execz .LBB12_204
; %bb.202:
	global_load_dword v0, v[20:21], off
	v_bfrev_b32_e32 v1, -2
	s_waitcnt vmcnt(0)
	v_cmp_gt_i32_e32 vcc, 0, v0
	v_cndmask_b32_e64 v1, v1, 0, vcc
	v_xor_b32_e32 v0, v1, v0
	v_and_b32_e32 v1, 0xfffffc00, v0
	s_waitcnt lgkmcnt(0)
	v_cmp_eq_u32_e32 vcc, v1, v23
	s_and_b64 exec, exec, vcc
	s_cbranch_execz .LBB12_204
; %bb.203:
	v_and_b32_e32 v0, 0x7ff, v0
	v_lshlrev_b32_e32 v0, 2, v0
	v_mov_b32_e32 v1, 1
	ds_add_u32 v0, v1 offset:9088
.LBB12_204:
	s_or_b64 exec, exec, s[10:11]
	s_waitcnt lgkmcnt(0)
	s_barrier
	flat_load_dword v0, v[12:13] glc
	s_waitcnt vmcnt(0)
	flat_load_dword v1, v[14:15] glc
	s_waitcnt vmcnt(0) lgkmcnt(0)
	ds_write_b32 v29, v0
	ds_write_b32 v30, v1 offset:4096
	s_waitcnt lgkmcnt(0)
	s_barrier
	ds_read2_b32 v[0:1], v31 offset1:1
	s_waitcnt lgkmcnt(0)
	s_barrier
	v_add_u32_e32 v2, v1, v0
	ds_write_b32 v29, v2
	s_waitcnt lgkmcnt(0)
	s_barrier
	s_and_saveexec_b64 s[10:11], s[16:17]
	s_cbranch_execz .LBB12_206
; %bb.205:
	ds_read2_b32 v[4:5], v26 offset1:1
	ds_read2_b32 v[6:7], v26 offset0:2 offset1:3
	ds_read2_b32 v[8:9], v26 offset0:4 offset1:5
	;; [unrolled: 1-line block ×7, first 2 shown]
	s_waitcnt lgkmcnt(7)
	v_add_u32_e32 v3, v5, v4
	s_waitcnt lgkmcnt(6)
	v_add3_u32 v3, v3, v6, v7
	s_waitcnt lgkmcnt(5)
	v_add3_u32 v3, v3, v8, v9
	;; [unrolled: 2-line block ×5, first 2 shown]
	v_mbcnt_lo_u32_b32 v23, -1, 0
	s_waitcnt lgkmcnt(1)
	v_add3_u32 v3, v3, v20, v21
	v_mbcnt_hi_u32_b32 v23, -1, v23
	s_waitcnt lgkmcnt(0)
	v_add3_u32 v3, v3, v24, v25
	v_and_b32_e32 v27, 15, v23
	v_cmp_ne_u32_e32 vcc, 0, v27
	v_mov_b32_dpp v33, v3 row_shr:1 row_mask:0xf bank_mask:0xf
	v_cndmask_b32_e32 v33, 0, v33, vcc
	v_add_u32_e32 v3, v33, v3
	v_cmp_lt_u32_e32 vcc, 1, v27
	s_nop 0
	v_mov_b32_dpp v33, v3 row_shr:2 row_mask:0xf bank_mask:0xf
	v_cndmask_b32_e32 v33, 0, v33, vcc
	v_add_u32_e32 v3, v3, v33
	v_cmp_lt_u32_e32 vcc, 3, v27
	s_nop 0
	;; [unrolled: 5-line block ×3, first 2 shown]
	v_mov_b32_dpp v33, v3 row_shr:8 row_mask:0xf bank_mask:0xf
	v_cndmask_b32_e32 v27, 0, v33, vcc
	v_add_u32_e32 v3, v3, v27
	v_bfe_i32 v33, v23, 4, 1
	v_cmp_lt_u32_e32 vcc, 31, v23
	v_mov_b32_dpp v27, v3 row_bcast:15 row_mask:0xf bank_mask:0xf
	v_and_b32_e32 v27, v33, v27
	v_add_u32_e32 v3, v3, v27
	v_and_b32_e32 v33, 64, v23
	s_nop 0
	v_mov_b32_dpp v27, v3 row_bcast:31 row_mask:0xf bank_mask:0xf
	v_cndmask_b32_e32 v27, 0, v27, vcc
	v_add_u32_e32 v3, v3, v27
	v_add_u32_e32 v27, -1, v23
	v_cmp_lt_i32_e32 vcc, v27, v33
	v_cndmask_b32_e32 v23, v27, v23, vcc
	v_lshlrev_b32_e32 v23, 2, v23
	ds_bpermute_b32 v3, v23, v3
	s_waitcnt lgkmcnt(0)
	v_add_u32_e32 v3, v3, v4
	v_cndmask_b32_e64 v2, v3, v2, s[6:7]
	v_add_u32_e32 v3, v2, v5
	ds_write2_b32 v26, v2, v3 offset1:1
	v_add_u32_e32 v2, v3, v6
	v_add_u32_e32 v3, v2, v7
	ds_write2_b32 v26, v2, v3 offset0:2 offset1:3
	v_add_u32_e32 v2, v3, v8
	v_add_u32_e32 v3, v2, v9
	ds_write2_b32 v26, v2, v3 offset0:4 offset1:5
	;; [unrolled: 3-line block ×7, first 2 shown]
.LBB12_206:
	s_or_b64 exec, exec, s[10:11]
	v_mov_b32_e32 v2, 0
	v_mov_b32_e32 v3, 0
	s_waitcnt lgkmcnt(0)
	s_barrier
	s_and_saveexec_b64 s[10:11], s[8:9]
	s_cbranch_execz .LBB12_208
; %bb.207:
	ds_read_b32 v3, v32
.LBB12_208:
	s_or_b64 exec, exec, s[10:11]
	s_waitcnt lgkmcnt(0)
	v_add_u32_e32 v0, v3, v0
	v_add_u32_e32 v1, v0, v1
	s_barrier
	ds_write2_b32 v31, v0, v1 offset1:1
	s_waitcnt lgkmcnt(0)
	s_barrier
	ds_read_b32 v0, v29
	ds_read_b32 v1, v30 offset:4096
	s_waitcnt lgkmcnt(1)
	flat_store_dword v[12:13], v0
	s_waitcnt vmcnt(0) lgkmcnt(0)
	flat_store_dword v[14:15], v1
	s_waitcnt vmcnt(0) lgkmcnt(0)
	s_barrier
	ds_read_b32 v0, v2 offset:12
	s_mov_b64 s[10:11], 0
	s_movk_i32 s14, 0x7ff
	v_mov_b32_e32 v1, v40
	s_branch .LBB12_210
.LBB12_209:                             ;   in Loop: Header=BB12_210 Depth=1
	s_or_b64 exec, exec, s[8:9]
	v_add_u32_e32 v1, s43, v1
	v_cmp_lt_u32_e32 vcc, s14, v1
	s_or_b64 s[10:11], vcc, s[10:11]
	v_add_u32_e32 v28, s44, v28
	s_andn2_b64 exec, exec, s[10:11]
	s_cbranch_execz .LBB12_214
.LBB12_210:                             ; =>This Inner Loop Header: Depth=1
	v_cmp_ne_u32_e32 vcc, 0, v1
	v_mov_b32_e32 v3, 0
	s_and_saveexec_b64 s[8:9], vcc
	s_cbranch_execz .LBB12_212
; %bb.211:                              ;   in Loop: Header=BB12_210 Depth=1
	ds_read_b32 v3, v28
.LBB12_212:                             ;   in Loop: Header=BB12_210 Depth=1
	s_or_b64 exec, exec, s[8:9]
	ds_read_b32 v4, v28 offset:4
	s_waitcnt lgkmcnt(1)
	v_cmp_lt_i32_e32 vcc, v3, v22
	s_waitcnt lgkmcnt(0)
	v_cmp_ge_i32_e64 s[8:9], v4, v22
	s_and_b64 s[16:17], vcc, s[8:9]
	s_and_saveexec_b64 s[8:9], s[16:17]
	s_cbranch_execz .LBB12_209
; %bb.213:                              ;   in Loop: Header=BB12_210 Depth=1
	v_sub_u32_e32 v5, v4, v3
	v_sub_u32_e32 v4, v22, v3
	v_or_b32_e32 v0, v0, v1
	ds_write_b64 v2, v[4:5]
	ds_write_b32 v2, v0 offset:12
	s_branch .LBB12_209
.LBB12_214:
	s_or_b64 exec, exec, s[10:11]
	s_and_saveexec_b64 s[8:9], s[6:7]
	s_cbranch_execz .LBB12_216
; %bb.215:
	v_mov_b32_e32 v0, 0
	ds_read_b32 v1, v0 offset:4
	s_waitcnt lgkmcnt(0)
	ds_write_b32 v0, v1 offset:8
.LBB12_216:
	s_or_b64 exec, exec, s[8:9]
	s_mov_b32 s20, 2
	s_waitcnt lgkmcnt(0)
	s_barrier
.LBB12_217:
	s_add_u32 s6, s22, s24
	s_addc_u32 s7, s23, s25
	s_cmp_lg_u64 s[22:23], 0
	s_cselect_b32 s10, s6, 0
	s_cselect_b32 s11, s7, 0
	s_add_u32 s8, s4, 0x58
	s_addc_u32 s9, s5, 0
	s_mov_b64 s[4:5], src_shared_base
	v_mov_b32_e32 v31, v40
	v_mov_b32_e32 v0, s46
	;; [unrolled: 1-line block ×12, first 2 shown]
	s_getpc_b64 s[6:7]
	s_add_u32 s6, s6, _ZN5aiter2ob11last_filterIfiLi11ELb0ELb0EEEvPKT_PKT0_PS2_PS5_S5_S5_PNS0_7CounterIS2_S5_EEbib@rel32@lo+4
	s_addc_u32 s7, s7, _ZN5aiter2ob11last_filterIfiLi11ELb0ELb0EEEvPKT_PKT0_PS2_PS5_S5_S5_PNS0_7CounterIS2_S5_EEbib@rel32@hi+12
	s_swappc_b64 s[30:31], s[6:7]
	s_cmp_eq_u32 s33, 0
	s_cbranch_scc1 .LBB12_228
; %bb.218:
	v_cmp_gt_i32_e32 vcc, s40, v40
	s_barrier
	s_and_saveexec_b64 s[4:5], vcc
	s_cbranch_execz .LBB12_228
; %bb.219:
	v_xad_u32 v0, v40, -1, s40
	s_movk_i32 s4, 0x3ff
	v_cmp_lt_u32_e32 vcc, s4, v0
	s_mov_b64 s[6:7], -1
	s_and_saveexec_b64 s[4:5], vcc
	s_cbranch_execz .LBB12_225
; %bb.220:
	v_lshrrev_b32_e32 v0, 10, v0
	v_add_u32_e32 v5, 1, v0
	v_and_b32_e32 v4, 0x7ffffe, v5
	v_or_b32_e32 v41, 0x400, v40
	s_mov_b32 s8, s33
	s_mov_b64 s[6:7], 0
	v_mov_b32_e32 v6, s42
	v_mov_b32_e32 v1, 0
	;; [unrolled: 1-line block ×3, first 2 shown]
	v_pk_mov_b32 v[2:3], v[40:41], v[40:41] op_sel:[0,1]
.LBB12_221:                             ; =>This Inner Loop Header: Depth=1
	v_mov_b32_e32 v0, v2
	v_lshlrev_b64 v[8:9], 2, v[0:1]
	v_mov_b32_e32 v0, v3
	v_add_co_u32_e32 v8, vcc, s41, v8
	v_addc_co_u32_e32 v9, vcc, v6, v9, vcc
	v_lshlrev_b64 v[10:11], 2, v[0:1]
	v_add_co_u32_e32 v10, vcc, s41, v10
	v_addc_co_u32_e32 v11, vcc, v6, v11, vcc
	global_load_dword v0, v[8:9], off
	global_load_dword v12, v[10:11], off
	v_add_u32_e32 v7, -2, v7
	v_cmp_eq_u32_e32 vcc, 0, v7
	v_add_u32_e32 v2, 0x800, v2
	v_add_u32_e32 v3, 0x800, v3
	s_or_b64 s[6:7], vcc, s[6:7]
	s_waitcnt vmcnt(1)
	v_add_u32_e32 v0, s33, v0
	s_waitcnt vmcnt(0)
	v_add_u32_e32 v12, s8, v12
	global_store_dword v[8:9], v0, off
	global_store_dword v[10:11], v12, off
	s_andn2_b64 exec, exec, s[6:7]
	s_cbranch_execnz .LBB12_221
; %bb.222:
	s_or_b64 exec, exec, s[6:7]
	v_cmp_ne_u32_e32 vcc, v5, v4
	s_mov_b64 s[6:7], 0
	s_and_saveexec_b64 s[8:9], vcc
; %bb.223:
	s_mov_b64 s[6:7], exec
	v_lshl_or_b32 v40, v4, 10, v40
	v_mov_b32_e32 v41, 0
; %bb.224:
	s_or_b64 exec, exec, s[8:9]
	s_orn2_b64 s[6:7], s[6:7], exec
.LBB12_225:
	s_or_b64 exec, exec, s[4:5]
	s_and_b64 exec, exec, s[6:7]
	s_cbranch_execz .LBB12_228
; %bb.226:
	s_add_u32 s4, s28, s34
	v_lshlrev_b64 v[0:1], 2, v[40:41]
	s_addc_u32 s5, s29, s35
	v_mov_b32_e32 v2, s5
	v_add_co_u32_e32 v0, vcc, s4, v0
	v_addc_co_u32_e32 v1, vcc, v2, v1, vcc
	s_mov_b64 s[4:5], 0
.LBB12_227:                             ; =>This Inner Loop Header: Depth=1
	global_load_dword v2, v[0:1], off
	v_add_u32_e32 v40, 0x400, v40
	v_cmp_le_i32_e32 vcc, s40, v40
	s_or_b64 s[4:5], vcc, s[4:5]
	s_waitcnt vmcnt(0)
	v_add_u32_e32 v2, s33, v2
	global_store_dword v[0:1], v2, off
	v_add_co_u32_e32 v0, vcc, 0x1000, v0
	v_addc_co_u32_e32 v1, vcc, 0, v1, vcc
	s_andn2_b64 exec, exec, s[4:5]
	s_cbranch_execnz .LBB12_227
.LBB12_228:
	s_endpgm
	.section	.rodata,"a",@progbits
	.p2align	6, 0x0
	.amdhsa_kernel _ZN5aiter2ob27radix_topk_one_block_kernelIfiLi11ELi1024ELb0ELb0ELNS0_5PhaseE0EEEvPKT_PKT0_lS8_S8_S6_PS3_PS6_bPci
		.amdhsa_group_segment_fixed_size 17280
		.amdhsa_private_segment_fixed_size 0
		.amdhsa_kernarg_size 344
		.amdhsa_user_sgpr_count 8
		.amdhsa_user_sgpr_private_segment_buffer 1
		.amdhsa_user_sgpr_dispatch_ptr 0
		.amdhsa_user_sgpr_queue_ptr 0
		.amdhsa_user_sgpr_kernarg_segment_ptr 1
		.amdhsa_user_sgpr_dispatch_id 0
		.amdhsa_user_sgpr_flat_scratch_init 1
		.amdhsa_user_sgpr_kernarg_preload_length 0
		.amdhsa_user_sgpr_kernarg_preload_offset 0
		.amdhsa_user_sgpr_private_segment_size 0
		.amdhsa_uses_dynamic_stack 0
		.amdhsa_system_sgpr_private_segment_wavefront_offset 0
		.amdhsa_system_sgpr_workgroup_id_x 1
		.amdhsa_system_sgpr_workgroup_id_y 0
		.amdhsa_system_sgpr_workgroup_id_z 0
		.amdhsa_system_sgpr_workgroup_info 0
		.amdhsa_system_vgpr_workitem_id 0
		.amdhsa_next_free_vgpr 71
		.amdhsa_next_free_sgpr 56
		.amdhsa_accum_offset 60
		.amdhsa_reserve_vcc 1
		.amdhsa_reserve_flat_scratch 1
		.amdhsa_float_round_mode_32 0
		.amdhsa_float_round_mode_16_64 0
		.amdhsa_float_denorm_mode_32 3
		.amdhsa_float_denorm_mode_16_64 3
		.amdhsa_dx10_clamp 1
		.amdhsa_ieee_mode 1
		.amdhsa_fp16_overflow 0
		.amdhsa_tg_split 0
		.amdhsa_exception_fp_ieee_invalid_op 0
		.amdhsa_exception_fp_denorm_src 0
		.amdhsa_exception_fp_ieee_div_zero 0
		.amdhsa_exception_fp_ieee_overflow 0
		.amdhsa_exception_fp_ieee_underflow 0
		.amdhsa_exception_fp_ieee_inexact 0
		.amdhsa_exception_int_div_zero 0
	.end_amdhsa_kernel
	.section	.text._ZN5aiter2ob27radix_topk_one_block_kernelIfiLi11ELi1024ELb0ELb0ELNS0_5PhaseE0EEEvPKT_PKT0_lS8_S8_S6_PS3_PS6_bPci,"axG",@progbits,_ZN5aiter2ob27radix_topk_one_block_kernelIfiLi11ELi1024ELb0ELb0ELNS0_5PhaseE0EEEvPKT_PKT0_lS8_S8_S6_PS3_PS6_bPci,comdat
.Lfunc_end12:
	.size	_ZN5aiter2ob27radix_topk_one_block_kernelIfiLi11ELi1024ELb0ELb0ELNS0_5PhaseE0EEEvPKT_PKT0_lS8_S8_S6_PS3_PS6_bPci, .Lfunc_end12-_ZN5aiter2ob27radix_topk_one_block_kernelIfiLi11ELi1024ELb0ELb0ELNS0_5PhaseE0EEEvPKT_PKT0_lS8_S8_S6_PS3_PS6_bPci
                                        ; -- End function
	.section	.AMDGPU.csdata,"",@progbits
; Kernel info:
; codeLenInByte = 10252
; NumSgprs: 62
; NumVgprs: 59
; NumAgprs: 11
; TotalNumVgprs: 71
; ScratchSize: 0
; MemoryBound: 0
; FloatMode: 240
; IeeeMode: 1
; LDSByteSize: 17280 bytes/workgroup (compile time only)
; SGPRBlocks: 7
; VGPRBlocks: 8
; NumSGPRsForWavesPerEU: 62
; NumVGPRsForWavesPerEU: 71
; AccumOffset: 60
; Occupancy: 7
; WaveLimiterHint : 0
; COMPUTE_PGM_RSRC2:SCRATCH_EN: 0
; COMPUTE_PGM_RSRC2:USER_SGPR: 8
; COMPUTE_PGM_RSRC2:TRAP_HANDLER: 0
; COMPUTE_PGM_RSRC2:TGID_X_EN: 1
; COMPUTE_PGM_RSRC2:TGID_Y_EN: 0
; COMPUTE_PGM_RSRC2:TGID_Z_EN: 0
; COMPUTE_PGM_RSRC2:TIDIG_COMP_CNT: 0
; COMPUTE_PGM_RSRC3_GFX90A:ACCUM_OFFSET: 14
; COMPUTE_PGM_RSRC3_GFX90A:TG_SPLIT: 0
	.section	.text._ZN5aiter2mb23radix_kernel_persistentIfiLi11ELi1024ELb0ELb0ELNS0_5PhaseE1EEEvPKT_PKT0_PS3_PS6_PNS0_7CounterIS3_S6_EESA_S6_S8_S8_S6_S6_b,"axG",@progbits,_ZN5aiter2mb23radix_kernel_persistentIfiLi11ELi1024ELb0ELb0ELNS0_5PhaseE1EEEvPKT_PKT0_PS3_PS6_PNS0_7CounterIS3_S6_EESA_S6_S8_S8_S6_S6_b,comdat
	.protected	_ZN5aiter2mb23radix_kernel_persistentIfiLi11ELi1024ELb0ELb0ELNS0_5PhaseE1EEEvPKT_PKT0_PS3_PS6_PNS0_7CounterIS3_S6_EESA_S6_S8_S8_S6_S6_b ; -- Begin function _ZN5aiter2mb23radix_kernel_persistentIfiLi11ELi1024ELb0ELb0ELNS0_5PhaseE1EEEvPKT_PKT0_PS3_PS6_PNS0_7CounterIS3_S6_EESA_S6_S8_S8_S6_S6_b
	.globl	_ZN5aiter2mb23radix_kernel_persistentIfiLi11ELi1024ELb0ELb0ELNS0_5PhaseE1EEEvPKT_PKT0_PS3_PS6_PNS0_7CounterIS3_S6_EESA_S6_S8_S8_S6_S6_b
	.p2align	8
	.type	_ZN5aiter2mb23radix_kernel_persistentIfiLi11ELi1024ELb0ELb0ELNS0_5PhaseE1EEEvPKT_PKT0_PS3_PS6_PNS0_7CounterIS3_S6_EESA_S6_S8_S8_S6_S6_b,@function
_ZN5aiter2mb23radix_kernel_persistentIfiLi11ELi1024ELb0ELb0ELNS0_5PhaseE1EEEvPKT_PKT0_PS3_PS6_PNS0_7CounterIS3_S6_EESA_S6_S8_S8_S6_S6_b: ; @_ZN5aiter2mb23radix_kernel_persistentIfiLi11ELi1024ELb0ELb0ELNS0_5PhaseE1EEEvPKT_PKT0_PS3_PS6_PNS0_7CounterIS3_S6_EESA_S6_S8_S8_S6_S6_b
; %bb.0:
	s_load_dwordx2 s[38:39], s[4:5], 0x48
	s_mov_b32 s2, 0
	s_waitcnt lgkmcnt(0)
	s_ashr_i32 s0, s39, 31
	s_mov_b32 s3, s0
	s_cmp_lg_u64 s[2:3], 0
	s_mov_b32 s12, s39
	s_cbranch_scc0 .LBB13_631
; %bb.1:
	s_add_u32 s8, s12, s0
	s_mov_b32 s2, s0
	s_mov_b32 s3, s0
	s_addc_u32 s9, s0, s0
	s_xor_b64 s[10:11], s[8:9], s[2:3]
	v_cvt_f32_u32_e32 v1, s10
	v_cvt_f32_u32_e32 v2, s11
	s_sub_u32 s0, 0, s10
	s_subb_u32 s1, 0, s11
	v_madmk_f32 v1, v2, 0x4f800000, v1
	v_rcp_f32_e32 v1, v1
	v_mul_f32_e32 v1, 0x5f7ffffc, v1
	v_mul_f32_e32 v2, 0x2f800000, v1
	v_trunc_f32_e32 v2, v2
	v_madmk_f32 v1, v2, 0xcf800000, v1
	v_cvt_u32_f32_e32 v2, v2
	v_cvt_u32_f32_e32 v1, v1
	v_readfirstlane_b32 s13, v2
	v_readfirstlane_b32 s14, v1
	s_mul_i32 s15, s0, s13
	s_mul_hi_u32 s17, s0, s14
	s_mul_i32 s16, s1, s14
	s_add_i32 s15, s17, s15
	s_add_i32 s15, s15, s16
	s_mul_i32 s18, s0, s14
	s_mul_hi_u32 s16, s14, s15
	s_mul_i32 s17, s14, s15
	s_mul_hi_u32 s14, s14, s18
	s_add_u32 s14, s14, s17
	s_addc_u32 s16, 0, s16
	s_mul_hi_u32 s19, s13, s18
	s_mul_i32 s18, s13, s18
	s_add_u32 s14, s14, s18
	s_mul_hi_u32 s17, s13, s15
	s_addc_u32 s14, s16, s19
	s_addc_u32 s16, s17, 0
	s_mul_i32 s15, s13, s15
	s_add_u32 s14, s14, s15
	s_addc_u32 s15, 0, s16
	v_add_co_u32_e32 v1, vcc, s14, v1
	s_cmp_lg_u64 vcc, 0
	s_addc_u32 s13, s13, s15
	v_readfirstlane_b32 s15, v1
	s_mul_i32 s14, s0, s13
	s_mul_hi_u32 s16, s0, s15
	s_add_i32 s14, s16, s14
	s_mul_i32 s1, s1, s15
	s_add_i32 s14, s14, s1
	s_mul_i32 s0, s0, s15
	s_mul_hi_u32 s16, s13, s0
	s_mul_i32 s17, s13, s0
	s_mul_i32 s19, s15, s14
	s_mul_hi_u32 s0, s15, s0
	s_mul_hi_u32 s18, s15, s14
	s_add_u32 s0, s0, s19
	s_addc_u32 s15, 0, s18
	s_add_u32 s0, s0, s17
	s_mul_hi_u32 s1, s13, s14
	s_addc_u32 s0, s15, s16
	s_addc_u32 s1, s1, 0
	s_mul_i32 s14, s13, s14
	s_add_u32 s0, s0, s14
	s_addc_u32 s1, 0, s1
	v_add_co_u32_e32 v1, vcc, s0, v1
	s_cmp_lg_u64 vcc, 0
	s_addc_u32 s0, s13, s1
	v_readfirstlane_b32 s13, v1
	s_mul_hi_u32 s1, s7, s0
	s_mul_i32 s0, s7, s0
	s_mul_hi_u32 s13, s7, s13
	s_add_u32 s0, s13, s0
	s_addc_u32 s1, 0, s1
	s_add_u32 s0, s0, 0
	s_addc_u32 s0, s1, 0
	s_addc_u32 s1, 0, 0
	s_add_u32 s13, s0, 0
	s_addc_u32 s14, 0, s1
	s_mul_i32 s0, s10, s14
	s_mul_hi_u32 s1, s10, s13
	s_add_i32 s0, s1, s0
	s_mul_i32 s1, s11, s13
	s_add_i32 s15, s0, s1
	s_mul_i32 s1, s10, s13
	v_mov_b32_e32 v1, s1
	s_sub_i32 s0, 0, s15
	v_sub_co_u32_e32 v1, vcc, s7, v1
	s_cmp_lg_u64 vcc, 0
	s_subb_u32 s16, s0, s11
	v_subrev_co_u32_e64 v2, s[0:1], s10, v1
	s_cmp_lg_u64 s[0:1], 0
	s_subb_u32 s0, s16, 0
	s_cmp_ge_u32 s0, s11
	v_readfirstlane_b32 s16, v2
	s_cselect_b32 s1, -1, 0
	s_cmp_ge_u32 s16, s10
	s_cselect_b32 s16, -1, 0
	s_cmp_eq_u32 s0, s11
	s_cselect_b32 s0, s16, s1
	s_add_u32 s1, s13, 1
	s_addc_u32 s16, s14, 0
	s_add_u32 s17, s13, 2
	s_addc_u32 s18, s14, 0
	s_cmp_lg_u32 s0, 0
	s_cselect_b32 s0, s17, s1
	s_cselect_b32 s1, s18, s16
	s_cmp_lg_u64 vcc, 0
	s_subb_u32 s15, 0, s15
	s_cmp_ge_u32 s15, s11
	v_readfirstlane_b32 s17, v1
	s_cselect_b32 s16, -1, 0
	s_cmp_ge_u32 s17, s10
	s_cselect_b32 s10, -1, 0
	s_cmp_eq_u32 s15, s11
	s_cselect_b32 s10, s10, s16
	s_cmp_lg_u32 s10, 0
	s_cselect_b32 s1, s1, s14
	s_cselect_b32 s0, s0, s13
	s_xor_b64 s[0:1], s[0:1], s[2:3]
	s_sub_u32 s0, s0, s2
	s_subb_u32 s1, s1, s3
	s_cbranch_execnz .LBB13_3
.LBB13_2:
	v_cvt_f32_u32_e32 v1, s12
	s_sub_i32 s0, 0, s12
	s_mov_b32 s1, 0
	v_rcp_iflag_f32_e32 v1, v1
	v_mul_f32_e32 v1, 0x4f7ffffe, v1
	v_cvt_u32_f32_e32 v1, v1
	v_readfirstlane_b32 s2, v1
	s_mul_i32 s0, s0, s2
	s_mul_hi_u32 s0, s2, s0
	s_add_i32 s2, s2, s0
	s_mul_hi_u32 s0, s7, s2
	s_mul_i32 s3, s0, s12
	s_sub_i32 s3, s7, s3
	s_add_i32 s2, s0, 1
	s_sub_i32 s8, s3, s12
	s_cmp_ge_u32 s3, s12
	s_cselect_b32 s0, s2, s0
	s_cselect_b32 s3, s8, s3
	s_add_i32 s2, s0, 1
	s_cmp_ge_u32 s3, s12
	s_cselect_b32 s0, s2, s0
.LBB13_3:
	s_load_dwordx2 s[2:3], s[4:5], 0x40
	s_load_dword s14, s[4:5], 0x64
	s_lshl_b64 s[8:9], s[0:1], 2
	s_mul_i32 s0, s0, s12
	v_and_b32_e32 v28, 0x3ff, v0
	s_waitcnt lgkmcnt(0)
	s_add_u32 s2, s2, s8
	s_addc_u32 s3, s3, s9
	s_load_dword s1, s[2:3], 0x0
	s_sub_i32 s0, s7, s0
	v_cmp_ne_u32_e64 s[20:21], 0, v28
	v_cmp_eq_u32_e64 s[22:23], 0, v28
	s_waitcnt lgkmcnt(0)
	s_sub_i32 s1, s1, s12
	s_add_i32 s46, s1, s0
	s_add_i32 s46, s46, 1
	s_add_u32 s40, s4, 0x58
	s_addc_u32 s41, s5, 0
	s_and_saveexec_b64 s[0:1], s[22:23]
	s_cbranch_execz .LBB13_5
; %bb.4:
	v_mov_b32_e32 v2, 0
	v_mov_b32_e32 v3, s38
	;; [unrolled: 1-line block ×3, first 2 shown]
	ds_write_b96 v2, v[2:4] offset:16896
.LBB13_5:
	s_or_b64 exec, exec, s[0:1]
	s_load_dword s12, s[4:5], 0x30
	s_load_dword s78, s[4:5], 0x58
	s_load_dwordx4 s[8:11], s[4:5], 0x0
	s_load_dwordx4 s[0:3], s[4:5], 0x18
	s_waitcnt lgkmcnt(0)
	s_ashr_i32 s13, s12, 31
	s_mul_hi_u32 s15, s12, s7
	s_mul_i32 s13, s13, s7
	s_add_i32 s13, s15, s13
	s_mul_i32 s12, s12, s7
	s_lshl_b64 s[12:13], s[12:13], 2
	s_add_u32 s15, s10, s12
	s_addc_u32 s16, s11, s13
	s_cmp_lg_u64 s[10:11], 0
	s_cselect_b32 s25, s16, 0
	s_cselect_b32 s24, s15, 0
	s_ashr_i32 s10, s38, 31
	s_mul_hi_u32 s11, s38, s7
	s_mul_i32 s10, s10, s7
	s_add_i32 s11, s11, s10
	s_mul_i32 s10, s38, s7
	s_lshl_b64 s[10:11], s[10:11], 2
	s_add_u32 s33, s0, s10
	s_addc_u32 s39, s1, s11
	s_and_b32 s73, 0xffff, s14
	s_cmp_le_i32 s46, s38
	s_mov_b64 s[0:1], -1
	s_barrier
	s_cbranch_scc0 .LBB13_14
; %bb.6:
	s_cmp_eq_u32 s6, 0
	s_cselect_b64 s[0:1], -1, 0
	v_cmp_gt_i32_e32 vcc, s38, v28
	s_and_b64 s[0:1], s[0:1], vcc
	s_and_saveexec_b64 s[10:11], s[0:1]
	s_cbranch_execz .LBB13_13
; %bb.7:
	s_cmp_eq_u64 s[24:25], 0
	s_mov_b64 s[14:15], 0
	s_cselect_b64 s[16:17], -1, 0
	v_mov_b32_e32 v1, s39
	v_mov_b32_e32 v2, v28
	s_branch .LBB13_9
.LBB13_8:                               ;   in Loop: Header=BB13_9 Depth=1
	s_or_b64 exec, exec, s[0:1]
	v_lshlrev_b64 v[6:7], 2, v[2:3]
	v_add_co_u32_e32 v6, vcc, s33, v6
	v_addc_co_u32_e32 v7, vcc, v1, v7, vcc
	v_add_u32_e32 v2, s73, v2
	v_cmp_le_i32_e32 vcc, s38, v2
	s_or_b64 s[14:15], vcc, s[14:15]
	s_waitcnt vmcnt(0)
	global_store_dword v[6:7], v4, off
	s_andn2_b64 exec, exec, s[14:15]
	s_cbranch_execz .LBB13_13
.LBB13_9:                               ; =>This Inner Loop Header: Depth=1
	v_cmp_le_i32_e32 vcc, s46, v2
	s_or_b64 s[0:1], vcc, s[16:17]
	s_xor_b64 s[0:1], s[0:1], -1
                                        ; implicit-def: $vgpr4
	s_and_saveexec_b64 s[18:19], s[0:1]
	s_xor_b64 s[18:19], exec, s[18:19]
	s_cbranch_execz .LBB13_11
; %bb.10:                               ;   in Loop: Header=BB13_9 Depth=1
	v_ashrrev_i32_e32 v3, 31, v2
	v_lshlrev_b64 v[4:5], 2, v[2:3]
	v_mov_b32_e32 v6, s25
	v_add_co_u32_e64 v4, s[0:1], s24, v4
	v_addc_co_u32_e64 v5, s[0:1], v6, v5, s[0:1]
	global_load_dword v4, v[4:5], off
.LBB13_11:                              ;   in Loop: Header=BB13_9 Depth=1
	s_andn2_saveexec_b64 s[0:1], s[18:19]
	s_cbranch_execz .LBB13_8
; %bb.12:                               ;   in Loop: Header=BB13_9 Depth=1
	s_waitcnt vmcnt(0)
	v_cndmask_b32_e64 v4, v2, -1, vcc
	v_ashrrev_i32_e32 v3, 31, v2
	s_branch .LBB13_8
.LBB13_13:
	s_or_b64 exec, exec, s[10:11]
	s_mov_b64 s[0:1], 0
.LBB13_14:
	s_andn2_b64 vcc, exec, s[0:1]
	s_cbranch_vccnz .LBB13_677
; %bb.15:
	s_load_dwordx2 s[0:1], s[4:5], 0x28
	s_mul_i32 s5, s7, 0x300
	s_mul_hi_u32 s4, s7, 0x300
	s_add_u32 s26, s2, s5
	s_addc_u32 s27, s3, s4
	s_mul_i32 s3, s7, 0x6000
	s_mul_hi_u32 s2, s7, 0x6000
	s_waitcnt lgkmcnt(0)
	s_add_u32 s42, s0, s3
	s_addc_u32 s43, s1, s2
	v_mov_b32_e32 v31, 0
	s_add_u32 s4, s8, s12
	v_mov_b32_e32 v29, v31
	v_mov_b32_e32 v1, s6
	s_addc_u32 s5, s9, s13
	v_mad_u64_u32 v[14:15], s[0:1], s73, v1, v[28:29]
	s_and_b32 s44, s4, 15
	s_sub_i32 s0, 16, s44
	s_mov_b32 s45, 0
	s_lshr_b32 s0, s0, 2
	s_cmp_lg_u64 s[44:45], 0
	s_cselect_b32 s0, s0, 0
	s_min_i32 s34, s0, s46
	s_ashr_i32 s35, s34, 31
	s_lshl_b64 s[0:1], s[34:35], 2
	s_add_u32 s64, s4, s0
	s_addc_u32 s70, s5, s1
	s_sub_i32 s0, s46, s34
	s_ashr_i32 s1, s0, 31
	s_lshr_b32 s1, s1, 30
	s_mul_hi_u32 s29, s73, s78
	s_mul_i32 s28, s73, s78
	s_add_i32 s7, s0, s1
	s_ashr_i32 s30, s7, 2
	s_mul_i32 s2, s29, 3
	s_mul_hi_u32 s0, s28, 3
	s_lshl_b32 s65, s28, 2
	s_add_i32 s71, s0, s2
	s_ashr_i32 s31, s30, 31
	s_lshl_b64 s[36:37], s[28:29], 4
	s_add_u32 s74, s64, s36
	s_addc_u32 s75, s70, s37
	v_ashrrev_i32_e32 v25, 31, v14
	v_mov_b32_e32 v24, v14
	v_mad_u64_u32 v[26:27], s[0:1], s28, 3, v[24:25]
	s_add_u32 s76, s74, s36
	s_addc_u32 s77, s75, s37
	s_and_b32 s0, s7, -4
	s_add_i32 s0, s0, s34
	v_lshlrev_b64 v[4:5], 2, v[14:15]
	v_add_u32_e32 v12, s0, v14
	v_mov_b32_e32 v1, s5
	v_add_co_u32_e32 v20, vcc, s4, v4
	v_ashrrev_i32_e32 v13, 31, v12
	v_add_u32_e32 v27, s2, v27
	v_cmp_gt_u64_e64 s[2:3], s[34:35], v[14:15]
	v_addc_co_u32_e32 v21, vcc, v1, v5, vcc
	v_lshlrev_b64 v[4:5], 2, v[12:13]
	v_bfe_u32 v13, v0, 20, 10
	v_bfe_u32 v15, v0, 10, 10
	v_lshrrev_b32_e32 v0, 3, v28
	v_lshlrev_b32_e32 v32, 2, v28
	v_and_b32_e32 v0, 0x7c, v0
	v_add_u32_e32 v29, v32, v0
	v_or_b32_e32 v0, 0x400, v28
	v_lshrrev_b32_e32 v0, 3, v0
	v_add_co_u32_e32 v16, vcc, s4, v4
	v_and_b32_e32 v0, 0xfc, v0
	v_addc_co_u32_e32 v17, vcc, v1, v5, vcc
	v_add_u32_e32 v52, v32, v0
	v_lshlrev_b32_e32 v0, 1, v28
	v_lshrrev_b32_e32 v1, 4, v28
	v_add_lshl_u32 v53, v1, v0, 2
	v_lshlrev_b32_e32 v0, 4, v28
	v_lshrrev_b32_e32 v1, 1, v28
	v_add_lshl_u32 v54, v1, v0, 2
	v_add_u32_e32 v0, -1, v28
	v_lshrrev_b32_e32 v1, 5, v0
	v_mov_b32_e32 v2, v31
	v_mov_b32_e32 v3, v14
	v_add_lshl_u32 v55, v1, v0, 2
	v_or_b32_e32 v0, s6, v28
	v_cmp_eq_u32_e64 s[12:13], 0, v0
	v_ashrrev_i64 v[0:1], 30, v[2:3]
	v_mov_b32_e32 v2, s25
	v_add_co_u32_e32 v22, vcc, s24, v0
	v_addc_co_u32_e32 v23, vcc, v2, v1, vcc
	v_cvt_f32_u32_e32 v1, s73
	s_add_i32 s78, s78, -1
	s_lshl_b32 s79, s73, 8
	s_mov_b64 s[4:5], src_shared_base
	v_rcp_iflag_f32_e32 v1, v1
	v_add_co_u32_e32 v18, vcc, s24, v4
	s_cmp_eq_u64 s[24:25], 0
	v_mul_f32_e32 v1, 0x4f7ffffe, v1
	v_addc_co_u32_e32 v19, vcc, v2, v5, vcc
	v_add_u32_e32 v0, s73, v28
	s_movk_i32 s4, 0x800
	v_cvt_u32_f32_e32 v1, v1
	v_cmp_gt_i32_e64 s[0:1], s46, v12
	s_cselect_b64 s[46:47], -1, 0
	s_cmp_lg_u64 s[24:25], 0
	v_mov_b32_e32 v3, s73
	v_cmp_gt_u32_e32 vcc, s4, v0
	v_mov_b32_e32 v35, s5
	v_mov_b32_e32 v37, s5
	s_cselect_b64 s[6:7], -1, 0
	v_max_u32_e32 v2, 0x800, v0
	v_addc_co_u32_e64 v0, s[4:5], v28, v3, vcc
	s_cmp_eq_u32 s73, 1
	s_cselect_b64 s[14:15], -1, 0
	s_sub_i32 s4, 0, s73
	v_sub_u32_e32 v0, v2, v0
	v_mul_lo_u32 v2, s4, v1
	v_mul_hi_u32 v2, v1, v2
	v_add_u32_e32 v1, v1, v2
	v_mul_hi_u32 v1, v0, v1
	v_mul_lo_u32 v2, v1, s73
	v_sub_u32_e32 v0, v0, v2
	v_add_u32_e32 v2, 1, v1
	v_cmp_le_u32_e64 s[4:5], s73, v0
	v_cndmask_b32_e64 v1, v1, v2, s[4:5]
	v_subrev_u32_e32 v2, s73, v0
	v_cndmask_b32_e64 v0, v0, v2, s[4:5]
	v_add_u32_e32 v2, 1, v1
	v_cmp_le_u32_e64 s[4:5], s73, v0
	v_cndmask_b32_e64 v0, v1, v2, s[4:5]
	v_addc_co_u32_e64 v1, s[4:5], 1, v0, vcc
	v_cmp_lt_u32_e64 s[4:5], 1, v1
	s_and_b64 s[48:49], s[4:5], s[14:15]
	s_lshl_b32 s80, s73, 1
	s_add_u32 s29, s24, 4
	v_addc_co_u32_e32 v0, vcc, -1, v0, vcc
	s_addc_u32 s35, s25, 0
	v_lshrrev_b32_e32 v3, 1, v0
	s_add_u32 s66, s24, 8
	v_add_u32_e32 v3, 1, v3
	v_cmp_lt_u32_e64 s[14:15], 13, v0
	s_addc_u32 s67, s25, 0
	v_mov_b32_e32 v0, s43
	v_add_co_u32_e32 v40, vcc, s42, v32
	v_and_b32_e32 v2, -2, v1
	v_and_b32_e32 v56, 7, v3
	s_add_u32 s68, s24, 12
	v_addc_co_u32_e32 v41, vcc, 0, v0, vcc
	v_mbcnt_lo_u32_b32 v0, -1, 0
	s_mul_i32 s72, s28, 3
	v_cmp_gt_u64_e64 s[8:9], s[30:31], v[26:27]
	v_add_u32_e32 v34, 0x2100, v32
	v_add_u32_e32 v36, 0x3100, v32
	v_cmp_gt_u32_e64 s[10:11], 64, v28
	v_mad_u64_u32 v[38:39], s[4:5], v2, s73, v[28:29]
	v_and_b32_e32 v57, -8, v3
	v_cmp_ne_u32_e64 s[16:17], 0, v56
	v_cmp_ne_u32_e64 s[18:19], v1, v2
	s_addc_u32 s69, s25, 0
	s_lshl_b32 s81, s73, 6
	s_lshl_b32 s82, s73, 3
	;; [unrolled: 1-line block ×3, first 2 shown]
	v_mov_b32_e32 v33, v31
	s_mov_b32 s84, s45
	s_lshl_b32 s85, s73, 4
	s_mul_i32 s86, s73, 6
	s_mul_i32 s87, s73, 10
	;; [unrolled: 1-line block ×4, first 2 shown]
	s_mov_b32 s90, s45
	v_add_u32_e32 v58, 0x20fc, v32
	v_mov_b32_e32 v59, 0x4204
	s_movk_i32 s91, 0x7ff
	v_mov_b32_e32 v60, 1
	v_bfrev_b32_e32 v61, -2
	v_mbcnt_hi_u32_b32 v62, -1, v0
	v_mov_b32_e32 v63, 0x2100
	s_mov_b64 s[50:51], s[42:43]
	s_mov_b32 s92, 0
	s_branch .LBB13_18
.LBB13_16:                              ;   in Loop: Header=BB13_18 Depth=1
	s_mov_b64 s[4:5], -1
	s_mov_b64 s[52:53], -1
                                        ; implicit-def: $sgpr92
                                        ; implicit-def: $vgpr40_vgpr41
                                        ; implicit-def: $sgpr50_sgpr51
                                        ; implicit-def: $sgpr93
.LBB13_17:                              ;   in Loop: Header=BB13_18 Depth=1
	s_and_b64 vcc, exec, s[52:53]
	s_cbranch_vccnz .LBB13_519
.LBB13_18:                              ; =>This Loop Header: Depth=1
                                        ;     Child Loop BB13_22 Depth 2
                                        ;     Child Loop BB13_26 Depth 2
	;; [unrolled: 1-line block ×15, first 2 shown]
	s_waitcnt lgkmcnt(0)
	ds_read2_b32 v[42:43], v59 offset1:1
	s_waitcnt lgkmcnt(0)
	v_cmp_eq_u32_e32 vcc, 0, v43
	s_cbranch_vccnz .LBB13_16
; %bb.19:                               ;   in Loop: Header=BB13_18 Depth=1
	s_mov_b64 s[52:53], -1
	v_mov_b32_e32 v0, v28
	v_mov_b32_e32 v1, v32
	s_and_saveexec_b64 s[4:5], s[48:49]
	s_cbranch_execz .LBB13_30
; %bb.20:                               ;   in Loop: Header=BB13_18 Depth=1
	s_waitcnt vmcnt(0)
	v_mov_b32_e32 v2, 0
	s_and_saveexec_b64 s[52:53], s[14:15]
	s_cbranch_execz .LBB13_24
; %bb.21:                               ;   in Loop: Header=BB13_18 Depth=1
	s_mov_b32 s44, 0
	s_mov_b64 s[54:55], 0
	v_mov_b32_e32 v0, v57
	v_mov_b32_e32 v1, v34
.LBB13_22:                              ;   Parent Loop BB13_18 Depth=1
                                        ; =>  This Inner Loop Header: Depth=2
	v_add_u32_e32 v2, s82, v1
	v_add_u32_e32 v3, s82, v2
	ds_write2_b32 v1, v31, v31 offset1:1
	ds_write2_b32 v2, v31, v31 offset1:1
	;; [unrolled: 1-line block ×3, first 2 shown]
	v_add_u32_e32 v3, s82, v3
	ds_write2_b32 v3, v31, v31 offset1:1
	v_add_u32_e32 v3, s82, v3
	v_add_u32_e32 v0, -8, v0
	ds_write2_b32 v3, v31, v31 offset1:1
	v_add_u32_e32 v3, s82, v3
	s_add_i32 s44, s44, 16
	v_cmp_eq_u32_e32 vcc, 0, v0
	ds_write2_b32 v3, v31, v31 offset1:1
	v_add_u32_e32 v3, s82, v3
	v_add_u32_e32 v1, s81, v1
	v_mov_b32_e32 v2, s44
	s_or_b64 s[54:55], vcc, s[54:55]
	ds_write2_b32 v3, v31, v31 offset1:1
	v_add_u32_e32 v3, s82, v3
	ds_write2_b32 v3, v31, v31 offset1:1
	s_andn2_b64 exec, exec, s[54:55]
	s_cbranch_execnz .LBB13_22
; %bb.23:                               ;   in Loop: Header=BB13_18 Depth=1
	s_or_b64 exec, exec, s[54:55]
.LBB13_24:                              ;   in Loop: Header=BB13_18 Depth=1
	s_or_b64 exec, exec, s[52:53]
	s_and_saveexec_b64 s[52:53], s[16:17]
	s_cbranch_execz .LBB13_27
; %bb.25:                               ;   in Loop: Header=BB13_18 Depth=1
	v_mad_u64_u32 v[0:1], s[54:55], s83, v2, v[34:35]
	s_mov_b64 s[54:55], 0
	v_mov_b32_e32 v1, v56
.LBB13_26:                              ;   Parent Loop BB13_18 Depth=1
                                        ; =>  This Inner Loop Header: Depth=2
	v_add_u32_e32 v1, -1, v1
	v_cmp_eq_u32_e32 vcc, 0, v1
	ds_write2_b32 v0, v31, v31 offset1:1
	s_or_b64 s[54:55], vcc, s[54:55]
	v_add_u32_e32 v0, s82, v0
	s_andn2_b64 exec, exec, s[54:55]
	s_cbranch_execnz .LBB13_26
.LBB13_27:                              ;   in Loop: Header=BB13_18 Depth=1
	s_or_b64 exec, exec, s[52:53]
	s_mov_b64 s[52:53], 0
                                        ; implicit-def: $vgpr1
	s_and_saveexec_b64 s[54:55], s[18:19]
	s_xor_b64 s[54:55], exec, s[54:55]
; %bb.28:                               ;   in Loop: Header=BB13_18 Depth=1
	s_mov_b64 s[52:53], exec
	v_lshlrev_b32_e32 v1, 2, v38
; %bb.29:                               ;   in Loop: Header=BB13_18 Depth=1
	s_or_b64 exec, exec, s[54:55]
	s_orn2_b64 s[52:53], s[52:53], exec
	v_mov_b32_e32 v0, v38
.LBB13_30:                              ;   in Loop: Header=BB13_18 Depth=1
	s_or_b64 exec, exec, s[4:5]
	s_and_saveexec_b64 s[4:5], s[52:53]
	s_cbranch_execz .LBB13_33
; %bb.31:                               ;   in Loop: Header=BB13_18 Depth=1
	v_add_u32_e32 v1, 0x2100, v1
	s_mov_b64 s[52:53], 0
.LBB13_32:                              ;   Parent Loop BB13_18 Depth=1
                                        ; =>  This Inner Loop Header: Depth=2
	v_add_u32_e32 v0, s73, v0
	v_cmp_lt_u32_e32 vcc, s91, v0
	ds_write_b32 v1, v31
	s_or_b64 s[52:53], vcc, s[52:53]
	v_add_u32_e32 v1, s83, v1
	s_andn2_b64 exec, exec, s[52:53]
	s_cbranch_execnz .LBB13_32
.LBB13_33:                              ;   in Loop: Header=BB13_18 Depth=1
	s_or_b64 exec, exec, s[4:5]
	v_cmp_ne_u32_e32 vcc, v43, v42
	s_mul_i32 s93, s92, -11
	s_waitcnt lgkmcnt(0)
	s_barrier
	s_cbranch_vccz .LBB13_70
; %bb.34:                               ;   in Loop: Header=BB13_18 Depth=1
	s_max_i32 s58, s93, 0xffffffeb
	s_add_i32 s58, s58, 21
	s_cmp_lg_u32 s92, 0
	s_cbranch_scc0 .LBB13_71
; %bb.35:                               ;   in Loop: Header=BB13_18 Depth=1
	ds_read_b32 v30, v31 offset:16896
	s_add_i32 s44, s93, 32
	v_mov_b32_e32 v44, v14
	s_and_saveexec_b64 s[4:5], s[8:9]
	s_cbranch_execz .LBB13_73
; %bb.36:                               ;   in Loop: Header=BB13_18 Depth=1
	s_lshl_b32 s56, -1, s44
	s_mov_b64 s[52:53], 0
	v_pk_mov_b32 v[8:9], v[26:27], v[26:27] op_sel:[0,1]
	v_pk_mov_b32 v[44:45], v[24:25], v[24:25] op_sel:[0,1]
	s_branch .LBB13_38
.LBB13_37:                              ;   in Loop: Header=BB13_38 Depth=2
	s_or_b64 exec, exec, s[54:55]
	v_add_u32_e32 v44, s65, v44
	v_ashrrev_i32_e32 v45, 31, v44
	v_mov_b32_e32 v0, s71
	v_add_co_u32_e32 v8, vcc, s72, v44
	v_addc_co_u32_e32 v9, vcc, v0, v45, vcc
	v_cmp_le_u64_e32 vcc, s[30:31], v[8:9]
	s_or_b64 s[52:53], vcc, s[52:53]
	s_andn2_b64 exec, exec, s[52:53]
	s_cbranch_execz .LBB13_72
.LBB13_38:                              ;   Parent Loop BB13_18 Depth=1
                                        ; =>  This Inner Loop Header: Depth=2
	v_lshlrev_b64 v[10:11], 4, v[44:45]
	v_mov_b32_e32 v1, s70
	v_add_co_u32_e32 v0, vcc, s64, v10
	v_addc_co_u32_e32 v1, vcc, v1, v11, vcc
	global_load_dwordx4 v[0:3], v[0:1], off
	v_mov_b32_e32 v5, s75
	v_add_co_u32_e32 v4, vcc, s74, v10
	v_addc_co_u32_e32 v5, vcc, v5, v11, vcc
	global_load_dwordx4 v[4:7], v[4:5], off
	s_waitcnt vmcnt(1)
	v_cmp_gt_i32_e32 vcc, 0, v0
	v_cndmask_b32_e64 v39, v61, 0, vcc
	v_xor_b32_e32 v0, v39, v0
	v_and_b32_e32 v39, s56, v0
	s_waitcnt lgkmcnt(0)
	v_cmp_eq_u32_e32 vcc, v39, v30
	s_and_saveexec_b64 s[54:55], vcc
	s_cbranch_execz .LBB13_40
; %bb.39:                               ;   in Loop: Header=BB13_38 Depth=2
	v_bfe_u32 v0, v0, s58, 11
	v_lshlrev_b32_e32 v0, 2, v0
	ds_add_u32 v0, v60 offset:8448
.LBB13_40:                              ;   in Loop: Header=BB13_38 Depth=2
	s_or_b64 exec, exec, s[54:55]
	v_cmp_gt_i32_e32 vcc, 0, v1
	v_cndmask_b32_e64 v0, v61, 0, vcc
	v_xor_b32_e32 v0, v0, v1
	v_and_b32_e32 v1, s56, v0
	v_cmp_eq_u32_e32 vcc, v1, v30
	s_and_saveexec_b64 s[54:55], vcc
	s_cbranch_execz .LBB13_42
; %bb.41:                               ;   in Loop: Header=BB13_38 Depth=2
	v_bfe_u32 v0, v0, s58, 11
	v_lshlrev_b32_e32 v0, 2, v0
	ds_add_u32 v0, v60 offset:8448
.LBB13_42:                              ;   in Loop: Header=BB13_38 Depth=2
	s_or_b64 exec, exec, s[54:55]
	v_cmp_gt_i32_e32 vcc, 0, v2
	v_cndmask_b32_e64 v0, v61, 0, vcc
	v_xor_b32_e32 v0, v0, v2
	v_and_b32_e32 v1, s56, v0
	;; [unrolled: 13-line block ×3, first 2 shown]
	v_cmp_eq_u32_e32 vcc, v1, v30
	s_and_saveexec_b64 s[54:55], vcc
	s_cbranch_execz .LBB13_46
; %bb.45:                               ;   in Loop: Header=BB13_38 Depth=2
	v_bfe_u32 v0, v0, s58, 11
	v_lshlrev_b32_e32 v0, 2, v0
	ds_add_u32 v0, v60 offset:8448
.LBB13_46:                              ;   in Loop: Header=BB13_38 Depth=2
	s_or_b64 exec, exec, s[54:55]
	v_mov_b32_e32 v1, s77
	v_add_co_u32_e32 v0, vcc, s76, v10
	v_addc_co_u32_e32 v1, vcc, v1, v11, vcc
	v_lshlrev_b64 v[2:3], 4, v[8:9]
	v_mov_b32_e32 v8, s70
	v_add_co_u32_e32 v2, vcc, s64, v2
	v_addc_co_u32_e32 v3, vcc, v8, v3, vcc
	global_load_dwordx4 v[8:11], v[0:1], off
	s_nop 0
	global_load_dwordx4 v[0:3], v[2:3], off
	s_waitcnt vmcnt(2)
	v_cmp_gt_i32_e32 vcc, 0, v4
	v_cndmask_b32_e64 v39, v61, 0, vcc
	v_xor_b32_e32 v4, v39, v4
	v_and_b32_e32 v39, s56, v4
	v_cmp_eq_u32_e32 vcc, v39, v30
	s_and_saveexec_b64 s[54:55], vcc
	s_cbranch_execz .LBB13_48
; %bb.47:                               ;   in Loop: Header=BB13_38 Depth=2
	v_bfe_u32 v4, v4, s58, 11
	v_lshlrev_b32_e32 v4, 2, v4
	ds_add_u32 v4, v60 offset:8448
.LBB13_48:                              ;   in Loop: Header=BB13_38 Depth=2
	s_or_b64 exec, exec, s[54:55]
	v_cmp_gt_i32_e32 vcc, 0, v5
	v_cndmask_b32_e64 v4, v61, 0, vcc
	v_xor_b32_e32 v4, v4, v5
	v_and_b32_e32 v5, s56, v4
	v_cmp_eq_u32_e32 vcc, v5, v30
	s_and_saveexec_b64 s[54:55], vcc
	s_cbranch_execz .LBB13_50
; %bb.49:                               ;   in Loop: Header=BB13_38 Depth=2
	v_bfe_u32 v4, v4, s58, 11
	v_lshlrev_b32_e32 v4, 2, v4
	ds_add_u32 v4, v60 offset:8448
.LBB13_50:                              ;   in Loop: Header=BB13_38 Depth=2
	s_or_b64 exec, exec, s[54:55]
	;; [unrolled: 13-line block ×4, first 2 shown]
	s_waitcnt vmcnt(1)
	v_cmp_gt_i32_e32 vcc, 0, v8
	v_cndmask_b32_e64 v4, v61, 0, vcc
	v_xor_b32_e32 v4, v4, v8
	v_and_b32_e32 v5, s56, v4
	v_cmp_eq_u32_e32 vcc, v5, v30
	s_and_saveexec_b64 s[54:55], vcc
	s_cbranch_execz .LBB13_56
; %bb.55:                               ;   in Loop: Header=BB13_38 Depth=2
	v_bfe_u32 v4, v4, s58, 11
	v_lshlrev_b32_e32 v4, 2, v4
	ds_add_u32 v4, v60 offset:8448
.LBB13_56:                              ;   in Loop: Header=BB13_38 Depth=2
	s_or_b64 exec, exec, s[54:55]
	v_cmp_gt_i32_e32 vcc, 0, v9
	v_cndmask_b32_e64 v4, v61, 0, vcc
	v_xor_b32_e32 v4, v4, v9
	v_and_b32_e32 v5, s56, v4
	v_cmp_eq_u32_e32 vcc, v5, v30
	s_and_saveexec_b64 s[54:55], vcc
	s_cbranch_execz .LBB13_58
; %bb.57:                               ;   in Loop: Header=BB13_38 Depth=2
	v_bfe_u32 v4, v4, s58, 11
	v_lshlrev_b32_e32 v4, 2, v4
	ds_add_u32 v4, v60 offset:8448
.LBB13_58:                              ;   in Loop: Header=BB13_38 Depth=2
	s_or_b64 exec, exec, s[54:55]
	;; [unrolled: 13-line block ×4, first 2 shown]
	s_waitcnt vmcnt(0)
	v_cmp_gt_i32_e32 vcc, 0, v0
	v_cndmask_b32_e64 v4, v61, 0, vcc
	v_xor_b32_e32 v0, v4, v0
	v_and_b32_e32 v4, s56, v0
	v_cmp_eq_u32_e32 vcc, v4, v30
	s_and_saveexec_b64 s[54:55], vcc
	s_cbranch_execz .LBB13_64
; %bb.63:                               ;   in Loop: Header=BB13_38 Depth=2
	v_bfe_u32 v0, v0, s58, 11
	v_lshlrev_b32_e32 v0, 2, v0
	ds_add_u32 v0, v60 offset:8448
.LBB13_64:                              ;   in Loop: Header=BB13_38 Depth=2
	s_or_b64 exec, exec, s[54:55]
	v_cmp_gt_i32_e32 vcc, 0, v1
	v_cndmask_b32_e64 v0, v61, 0, vcc
	v_xor_b32_e32 v0, v0, v1
	v_and_b32_e32 v1, s56, v0
	v_cmp_eq_u32_e32 vcc, v1, v30
	s_and_saveexec_b64 s[54:55], vcc
	s_cbranch_execz .LBB13_66
; %bb.65:                               ;   in Loop: Header=BB13_38 Depth=2
	v_bfe_u32 v0, v0, s58, 11
	v_lshlrev_b32_e32 v0, 2, v0
	ds_add_u32 v0, v60 offset:8448
.LBB13_66:                              ;   in Loop: Header=BB13_38 Depth=2
	s_or_b64 exec, exec, s[54:55]
	;; [unrolled: 13-line block ×3, first 2 shown]
	v_cmp_gt_i32_e32 vcc, 0, v3
	v_cndmask_b32_e64 v0, v61, 0, vcc
	v_xor_b32_e32 v0, v0, v3
	v_and_b32_e32 v1, s56, v0
	v_cmp_eq_u32_e32 vcc, v1, v30
	s_and_saveexec_b64 s[54:55], vcc
	s_cbranch_execz .LBB13_37
; %bb.69:                               ;   in Loop: Header=BB13_38 Depth=2
	v_bfe_u32 v0, v0, s58, 11
	v_lshlrev_b32_e32 v0, 2, v0
	ds_add_u32 v0, v60 offset:8448
	s_branch .LBB13_37
.LBB13_70:                              ;   in Loop: Header=BB13_18 Depth=1
	s_mov_b64 s[52:53], -1
	s_mov_b64 s[4:5], 0
                                        ; implicit-def: $sgpr92
                                        ; implicit-def: $vgpr40_vgpr41
                                        ; implicit-def: $sgpr50_sgpr51
	s_branch .LBB13_17
.LBB13_71:                              ;   in Loop: Header=BB13_18 Depth=1
	s_mov_b64 s[52:53], 0
                                        ; implicit-def: $vgpr0
	s_cbranch_execnz .LBB13_92
	s_branch .LBB13_104
.LBB13_72:                              ;   in Loop: Header=BB13_18 Depth=1
	s_or_b64 exec, exec, s[52:53]
.LBB13_73:                              ;   in Loop: Header=BB13_18 Depth=1
	s_or_b64 exec, exec, s[4:5]
	v_cmp_gt_i32_e32 vcc, s30, v44
	s_and_saveexec_b64 s[4:5], vcc
	s_cbranch_execz .LBB13_84
; %bb.74:                               ;   in Loop: Header=BB13_18 Depth=1
	s_lshl_b32 s56, -1, s44
	s_mov_b64 s[52:53], 0
	s_branch .LBB13_76
.LBB13_75:                              ;   in Loop: Header=BB13_76 Depth=2
	s_or_b64 exec, exec, s[54:55]
	v_add_u32_e32 v44, s28, v44
	v_cmp_le_i32_e32 vcc, s30, v44
	s_or_b64 s[52:53], vcc, s[52:53]
	s_andn2_b64 exec, exec, s[52:53]
	s_cbranch_execz .LBB13_84
.LBB13_76:                              ;   Parent Loop BB13_18 Depth=1
                                        ; =>  This Inner Loop Header: Depth=2
	v_ashrrev_i32_e32 v45, 31, v44
	v_lshlrev_b64 v[0:1], 4, v[44:45]
	s_waitcnt vmcnt(0)
	v_mov_b32_e32 v2, s70
	v_add_co_u32_e32 v0, vcc, s64, v0
	v_addc_co_u32_e32 v1, vcc, v2, v1, vcc
	global_load_dwordx4 v[0:3], v[0:1], off
	s_waitcnt vmcnt(0)
	v_cmp_gt_i32_e32 vcc, 0, v0
	v_cndmask_b32_e64 v4, v61, 0, vcc
	v_xor_b32_e32 v0, v4, v0
	v_and_b32_e32 v4, s56, v0
	s_waitcnt lgkmcnt(0)
	v_cmp_eq_u32_e32 vcc, v4, v30
	s_and_saveexec_b64 s[54:55], vcc
	s_cbranch_execz .LBB13_78
; %bb.77:                               ;   in Loop: Header=BB13_76 Depth=2
	v_bfe_u32 v0, v0, s58, 11
	v_lshlrev_b32_e32 v0, 2, v0
	ds_add_u32 v0, v60 offset:8448
.LBB13_78:                              ;   in Loop: Header=BB13_76 Depth=2
	s_or_b64 exec, exec, s[54:55]
	v_cmp_gt_i32_e32 vcc, 0, v1
	v_cndmask_b32_e64 v0, v61, 0, vcc
	v_xor_b32_e32 v0, v0, v1
	v_and_b32_e32 v1, s56, v0
	v_cmp_eq_u32_e32 vcc, v1, v30
	s_and_saveexec_b64 s[54:55], vcc
	s_cbranch_execz .LBB13_80
; %bb.79:                               ;   in Loop: Header=BB13_76 Depth=2
	v_bfe_u32 v0, v0, s58, 11
	v_lshlrev_b32_e32 v0, 2, v0
	ds_add_u32 v0, v60 offset:8448
.LBB13_80:                              ;   in Loop: Header=BB13_76 Depth=2
	s_or_b64 exec, exec, s[54:55]
	v_cmp_gt_i32_e32 vcc, 0, v2
	v_cndmask_b32_e64 v0, v61, 0, vcc
	v_xor_b32_e32 v0, v0, v2
	v_and_b32_e32 v1, s56, v0
	;; [unrolled: 13-line block ×3, first 2 shown]
	v_cmp_eq_u32_e32 vcc, v1, v30
	s_and_saveexec_b64 s[54:55], vcc
	s_cbranch_execz .LBB13_75
; %bb.83:                               ;   in Loop: Header=BB13_76 Depth=2
	v_bfe_u32 v0, v0, s58, 11
	v_lshlrev_b32_e32 v0, 2, v0
	ds_add_u32 v0, v60 offset:8448
	s_branch .LBB13_75
.LBB13_84:                              ;   in Loop: Header=BB13_18 Depth=1
	s_or_b64 exec, exec, s[4:5]
	s_and_saveexec_b64 s[4:5], s[2:3]
	s_cbranch_execz .LBB13_87
; %bb.85:                               ;   in Loop: Header=BB13_18 Depth=1
	global_load_dword v0, v[20:21], off
	s_lshl_b32 s52, -1, s44
	s_waitcnt vmcnt(0)
	v_cmp_gt_i32_e32 vcc, 0, v0
	v_cndmask_b32_e64 v1, v61, 0, vcc
	v_xor_b32_e32 v0, v1, v0
	v_and_b32_e32 v1, s52, v0
	s_waitcnt lgkmcnt(0)
	v_cmp_eq_u32_e32 vcc, v1, v30
	s_and_b64 exec, exec, vcc
	s_cbranch_execz .LBB13_87
; %bb.86:                               ;   in Loop: Header=BB13_18 Depth=1
	v_bfe_u32 v0, v0, s58, 11
	v_lshlrev_b32_e32 v0, 2, v0
	ds_add_u32 v0, v60 offset:8448
.LBB13_87:                              ;   in Loop: Header=BB13_18 Depth=1
	s_or_b64 exec, exec, s[4:5]
	s_mov_b64 s[4:5], 0
	s_mov_b64 s[52:53], 0
                                        ; implicit-def: $vgpr0
	s_and_saveexec_b64 s[54:55], s[0:1]
	s_cbranch_execz .LBB13_91
; %bb.88:                               ;   in Loop: Header=BB13_18 Depth=1
	global_load_dword v0, v[16:17], off
	s_lshl_b32 s44, -1, s44
	s_waitcnt vmcnt(0)
	v_cmp_gt_i32_e32 vcc, 0, v0
	v_cndmask_b32_e64 v1, v61, 0, vcc
	v_xor_b32_e32 v1, v1, v0
	v_and_b32_e32 v0, s44, v1
	s_waitcnt lgkmcnt(0)
	v_cmp_eq_u32_e32 vcc, v0, v30
                                        ; implicit-def: $vgpr0
	s_and_saveexec_b64 s[56:57], vcc
	s_xor_b64 s[56:57], exec, s[56:57]
; %bb.89:                               ;   in Loop: Header=BB13_18 Depth=1
	s_mov_b64 s[52:53], exec
	v_bfe_u32 v0, v1, s58, 11
; %bb.90:                               ;   in Loop: Header=BB13_18 Depth=1
	s_or_b64 exec, exec, s[56:57]
	s_and_b64 s[52:53], s[52:53], exec
.LBB13_91:                              ;   in Loop: Header=BB13_18 Depth=1
	s_or_b64 exec, exec, s[54:55]
	s_and_b64 vcc, exec, s[4:5]
	s_cbranch_vccz .LBB13_104
.LBB13_92:                              ;   in Loop: Header=BB13_18 Depth=1
	v_mov_b32_e32 v8, v14
	s_and_saveexec_b64 s[54:55], s[8:9]
	s_cbranch_execz .LBB13_96
; %bb.93:                               ;   in Loop: Header=BB13_18 Depth=1
	s_mov_b64 s[56:57], 0
	v_pk_mov_b32 v[10:11], v[26:27], v[26:27] op_sel:[0,1]
	v_pk_mov_b32 v[8:9], v[24:25], v[24:25] op_sel:[0,1]
.LBB13_94:                              ;   Parent Loop BB13_18 Depth=1
                                        ; =>  This Inner Loop Header: Depth=2
	v_lshlrev_b64 v[4:5], 4, v[8:9]
	v_mov_b32_e32 v9, s70
	v_add_co_u32_e32 v0, vcc, s64, v4
	v_addc_co_u32_e32 v1, vcc, v9, v5, vcc
	global_load_dwordx4 v[0:3], v[0:1], off
	s_waitcnt lgkmcnt(0)
	v_mov_b32_e32 v30, s75
	s_waitcnt vmcnt(1)
	v_lshlrev_b64 v[6:7], 4, v[10:11]
	v_add_co_u32_e32 v10, vcc, s74, v4
	v_addc_co_u32_e32 v11, vcc, v30, v5, vcc
	global_load_dwordx4 v[44:47], v[10:11], off
	v_mov_b32_e32 v39, s77
	v_add_co_u32_e32 v4, vcc, s76, v4
	v_addc_co_u32_e32 v5, vcc, v39, v5, vcc
	v_add_co_u32_e32 v48, vcc, s64, v6
	v_addc_co_u32_e32 v49, vcc, v9, v7, vcc
	v_add_u32_e32 v8, s65, v8
	v_mov_b32_e32 v11, s71
	s_waitcnt vmcnt(1)
	v_cmp_gt_i32_e32 vcc, 0, v0
	v_cndmask_b32_e64 v6, v61, 0, vcc
	v_cmp_gt_i32_e32 vcc, 0, v1
	v_cndmask_b32_e64 v7, v61, 0, vcc
	;; [unrolled: 2-line block ×4, first 2 shown]
	v_xor_b32_e32 v0, v6, v0
	v_xor_b32_e32 v1, v7, v1
	;; [unrolled: 1-line block ×4, first 2 shown]
	v_bfe_u32 v0, v0, s58, 11
	v_bfe_u32 v1, v1, s58, 11
	;; [unrolled: 1-line block ×4, first 2 shown]
	v_lshlrev_b32_e32 v0, 2, v0
	v_lshlrev_b32_e32 v1, 2, v1
	;; [unrolled: 1-line block ×4, first 2 shown]
	ds_add_u32 v0, v60 offset:8448
	ds_add_u32 v1, v60 offset:8448
	;; [unrolled: 1-line block ×4, first 2 shown]
	global_load_dwordx4 v[4:7], v[4:5], off
	s_nop 0
	global_load_dwordx4 v[0:3], v[48:49], off
	s_waitcnt vmcnt(2)
	v_cmp_gt_i32_e64 s[4:5], 0, v44
	v_cndmask_b32_e64 v30, v61, 0, s[4:5]
	v_cmp_gt_i32_e64 s[4:5], 0, v45
	v_cndmask_b32_e64 v39, v61, 0, s[4:5]
	;; [unrolled: 2-line block ×4, first 2 shown]
	v_xor_b32_e32 v30, v30, v44
	v_xor_b32_e32 v39, v39, v45
	;; [unrolled: 1-line block ×4, first 2 shown]
	v_bfe_u32 v30, v30, s58, 11
	v_bfe_u32 v39, v39, s58, 11
	;; [unrolled: 1-line block ×4, first 2 shown]
	v_lshlrev_b32_e32 v30, 2, v30
	v_lshlrev_b32_e32 v39, 2, v39
	;; [unrolled: 1-line block ×4, first 2 shown]
	ds_add_u32 v30, v60 offset:8448
	ds_add_u32 v39, v60 offset:8448
	;; [unrolled: 1-line block ×4, first 2 shown]
	v_ashrrev_i32_e32 v9, 31, v8
	v_add_co_u32_e32 v10, vcc, s72, v8
	v_addc_co_u32_e32 v11, vcc, v11, v9, vcc
	v_cmp_le_u64_e32 vcc, s[30:31], v[10:11]
	s_or_b64 s[56:57], vcc, s[56:57]
	s_waitcnt vmcnt(1)
	v_cmp_gt_i32_e64 s[4:5], 0, v4
	v_cndmask_b32_e64 v30, v61, 0, s[4:5]
	v_cmp_gt_i32_e64 s[4:5], 0, v5
	v_cndmask_b32_e64 v39, v61, 0, s[4:5]
	v_cmp_gt_i32_e64 s[4:5], 0, v6
	v_cndmask_b32_e64 v43, v61, 0, s[4:5]
	v_cmp_gt_i32_e64 s[4:5], 0, v7
	v_cndmask_b32_e64 v44, v61, 0, s[4:5]
	s_waitcnt vmcnt(0)
	v_cmp_gt_i32_e64 s[4:5], 0, v0
	v_cndmask_b32_e64 v45, v61, 0, s[4:5]
	v_cmp_gt_i32_e64 s[4:5], 0, v1
	v_cndmask_b32_e64 v46, v61, 0, s[4:5]
	;; [unrolled: 2-line block ×4, first 2 shown]
	v_xor_b32_e32 v4, v30, v4
	v_xor_b32_e32 v5, v39, v5
	;; [unrolled: 1-line block ×8, first 2 shown]
	v_bfe_u32 v4, v4, s58, 11
	v_bfe_u32 v5, v5, s58, 11
	;; [unrolled: 1-line block ×8, first 2 shown]
	v_lshlrev_b32_e32 v4, 2, v4
	v_lshlrev_b32_e32 v5, 2, v5
	;; [unrolled: 1-line block ×8, first 2 shown]
	ds_add_u32 v4, v60 offset:8448
	ds_add_u32 v5, v60 offset:8448
	;; [unrolled: 1-line block ×8, first 2 shown]
	s_andn2_b64 exec, exec, s[56:57]
	s_cbranch_execnz .LBB13_94
; %bb.95:                               ;   in Loop: Header=BB13_18 Depth=1
	s_or_b64 exec, exec, s[56:57]
.LBB13_96:                              ;   in Loop: Header=BB13_18 Depth=1
	s_or_b64 exec, exec, s[54:55]
	v_cmp_gt_i32_e32 vcc, s30, v8
	s_and_saveexec_b64 s[4:5], vcc
	s_cbranch_execz .LBB13_99
; %bb.97:                               ;   in Loop: Header=BB13_18 Depth=1
	s_mov_b64 s[54:55], 0
.LBB13_98:                              ;   Parent Loop BB13_18 Depth=1
                                        ; =>  This Inner Loop Header: Depth=2
	v_ashrrev_i32_e32 v9, 31, v8
	v_lshlrev_b64 v[0:1], 4, v[8:9]
	s_waitcnt vmcnt(0)
	v_mov_b32_e32 v2, s70
	v_add_co_u32_e32 v0, vcc, s64, v0
	v_addc_co_u32_e32 v1, vcc, v2, v1, vcc
	global_load_dwordx4 v[0:3], v[0:1], off
	v_add_u32_e32 v8, s28, v8
	s_waitcnt vmcnt(0)
	v_cmp_gt_i32_e32 vcc, 0, v0
	v_cndmask_b32_e64 v4, v61, 0, vcc
	v_cmp_gt_i32_e32 vcc, 0, v1
	v_cndmask_b32_e64 v5, v61, 0, vcc
	;; [unrolled: 2-line block ×3, first 2 shown]
	v_cmp_gt_i32_e32 vcc, 0, v3
	v_xor_b32_e32 v0, v4, v0
	v_cndmask_b32_e64 v7, v61, 0, vcc
	v_xor_b32_e32 v1, v5, v1
	v_xor_b32_e32 v2, v6, v2
	v_bfe_u32 v0, v0, s58, 11
	v_xor_b32_e32 v3, v7, v3
	v_bfe_u32 v1, v1, s58, 11
	v_bfe_u32 v2, v2, s58, 11
	v_lshlrev_b32_e32 v0, 2, v0
	v_bfe_u32 v3, v3, s58, 11
	v_lshlrev_b32_e32 v1, 2, v1
	v_lshlrev_b32_e32 v2, 2, v2
	ds_add_u32 v0, v60 offset:8448
	ds_add_u32 v1, v60 offset:8448
	ds_add_u32 v2, v60 offset:8448
	v_lshlrev_b32_e32 v0, 2, v3
	ds_add_u32 v0, v60 offset:8448
	v_cmp_le_i32_e32 vcc, s30, v8
	s_or_b64 s[54:55], vcc, s[54:55]
	s_andn2_b64 exec, exec, s[54:55]
	s_cbranch_execnz .LBB13_98
.LBB13_99:                              ;   in Loop: Header=BB13_18 Depth=1
	s_or_b64 exec, exec, s[4:5]
	s_and_saveexec_b64 s[4:5], s[2:3]
	s_cbranch_execz .LBB13_101
; %bb.100:                              ;   in Loop: Header=BB13_18 Depth=1
	global_load_dword v0, v[20:21], off
	s_waitcnt vmcnt(0)
	v_cmp_gt_i32_e32 vcc, 0, v0
	v_cndmask_b32_e64 v1, v61, 0, vcc
	v_xor_b32_e32 v0, v1, v0
	v_bfe_u32 v0, v0, s58, 11
	v_lshlrev_b32_e32 v0, 2, v0
	ds_add_u32 v0, v60 offset:8448
.LBB13_101:                             ;   in Loop: Header=BB13_18 Depth=1
	s_or_b64 exec, exec, s[4:5]
                                        ; implicit-def: $vgpr0
	s_and_saveexec_b64 s[4:5], s[0:1]
	s_cbranch_execz .LBB13_103
; %bb.102:                              ;   in Loop: Header=BB13_18 Depth=1
	global_load_dword v0, v[16:17], off
	s_or_b64 s[52:53], s[52:53], exec
	s_waitcnt vmcnt(0)
	v_cmp_gt_i32_e32 vcc, 0, v0
	v_cndmask_b32_e64 v1, v61, 0, vcc
	v_xor_b32_e32 v0, v1, v0
	v_bfe_u32 v0, v0, s58, 11
.LBB13_103:                             ;   in Loop: Header=BB13_18 Depth=1
	s_or_b64 exec, exec, s[4:5]
.LBB13_104:                             ;   in Loop: Header=BB13_18 Depth=1
	s_and_saveexec_b64 s[4:5], s[52:53]
	s_cbranch_execz .LBB13_106
; %bb.105:                              ;   in Loop: Header=BB13_18 Depth=1
	v_lshlrev_b32_e32 v0, 2, v0
	ds_add_u32 v0, v60 offset:8448
.LBB13_106:                             ;   in Loop: Header=BB13_18 Depth=1
	s_or_b64 exec, exec, s[4:5]
	s_mov_b64 s[4:5], 0
	s_waitcnt vmcnt(0)
	v_mov_b32_e32 v2, v34
	v_pk_mov_b32 v[0:1], v[40:41], v[40:41] op_sel:[0,1]
	v_mov_b32_e32 v3, v28
	s_waitcnt lgkmcnt(0)
	s_barrier
	s_branch .LBB13_108
.LBB13_107:                             ;   in Loop: Header=BB13_108 Depth=2
	s_or_b64 exec, exec, s[52:53]
	v_mov_b32_e32 v4, s84
	v_add_co_u32_e32 v0, vcc, s83, v0
	v_add_u32_e32 v3, s73, v3
	v_addc_co_u32_e32 v1, vcc, v1, v4, vcc
	v_cmp_lt_u32_e32 vcc, s91, v3
	s_or_b64 s[4:5], vcc, s[4:5]
	v_add_u32_e32 v2, s83, v2
	s_andn2_b64 exec, exec, s[4:5]
	s_cbranch_execz .LBB13_110
.LBB13_108:                             ;   Parent Loop BB13_18 Depth=1
                                        ; =>  This Inner Loop Header: Depth=2
	ds_read_b32 v4, v2
	s_waitcnt lgkmcnt(0)
	v_cmp_ne_u32_e32 vcc, 0, v4
	s_and_saveexec_b64 s[52:53], vcc
	s_cbranch_execz .LBB13_107
; %bb.109:                              ;   in Loop: Header=BB13_108 Depth=2
	global_atomic_add v[0:1], v4, off
	s_branch .LBB13_107
.LBB13_110:                             ;   in Loop: Header=BB13_18 Depth=1
	s_or_b64 exec, exec, s[4:5]
	s_mov_b64 s[4:5], 0
	s_barrier
	s_and_saveexec_b64 s[52:53], s[22:23]
	s_cbranch_execz .LBB13_112
; %bb.111:                              ;   in Loop: Header=BB13_18 Depth=1
	v_mov_b32_e32 v0, s78
	global_atomic_inc v0, v31, v0, s[26:27] offset:256 glc
	s_waitcnt vmcnt(0)
	v_cmp_eq_u32_e32 vcc, s78, v0
	s_and_b64 s[4:5], vcc, exec
.LBB13_112:                             ;   in Loop: Header=BB13_18 Depth=1
	s_or_b64 exec, exec, s[52:53]
	global_load_dword v0, v31, s[40:41] offset:14
	v_cndmask_b32_e64 v1, 0, 1, s[4:5]
	s_waitcnt vmcnt(0)
	v_readfirstlane_b32 s4, v0
	v_or_b32_dpp v1, v1, v1 row_shl:1 row_mask:0xf bank_mask:0xf bound_ctrl:1
	s_lshr_b32 s52, s4, 16
	s_and_b32 s4, s4, 0xffff
	v_or_b32_dpp v1, v1, v1 row_shl:2 row_mask:0xf bank_mask:0xf bound_ctrl:1
	s_mul_i32 s53, s79, s4
	s_ashr_i32 s53, s53, 8
	v_or_b32_dpp v1, v1, v1 row_shl:4 row_mask:0xf bank_mask:0xf bound_ctrl:1
	s_mul_i32 s52, s53, s52
	s_add_i32 s52, s52, 63
	v_or_b32_dpp v1, v1, v1 row_shl:8 row_mask:0xf bank_mask:0xf bound_ctrl:1
	s_bitcmp1_b32 exec_hi, 0
	s_nop 0
	v_mov_b32_dpp v2, v1 wave_shl:1 row_mask:0xf bank_mask:0xf bound_ctrl:1
	s_nop 1
	v_or_b32_dpp v1, v2, v1 row_mirror row_mask:0xf bank_mask:0xf bound_ctrl:1
	v_readlane_b32 s5, v1, 32
	v_readlane_b32 s44, v1, 0
	s_cselect_b32 s5, s5, 0
	s_or_b32 s44, s5, s44
	s_andn2_b32 s52, s52, 63
	s_cmp_eq_u32 s52, 64
	v_mov_b32_e32 v0, s44
	s_cbranch_scc1 .LBB13_119
; %bb.113:                              ;   in Loop: Header=BB13_18 Depth=1
	v_mad_u32_u24 v0, v13, s4, v15
	v_mad_u64_u32 v[0:1], s[4:5], v0, s73, v[28:29]
	v_lshrrev_b32_e32 v1, 6, v0
	v_or_b32_e32 v1, v62, v1
	v_cmp_eq_u32_e32 vcc, 0, v1
	s_and_saveexec_b64 s[4:5], vcc
	s_cbranch_execz .LBB13_115
; %bb.114:                              ;   in Loop: Header=BB13_18 Depth=1
	v_mov_b32_e32 v1, s44
	ds_write_b32 v31, v1 offset:16640
.LBB13_115:                             ;   in Loop: Header=BB13_18 Depth=1
	s_or_b64 exec, exec, s[4:5]
	v_cmp_eq_u32_e32 vcc, 0, v62
	v_cmp_lt_u32_e64 s[4:5], 63, v0
	s_and_b64 s[52:53], s[4:5], vcc
	s_waitcnt lgkmcnt(0)
	s_barrier
	s_and_saveexec_b64 s[4:5], s[52:53]
	s_cbranch_execz .LBB13_118
; %bb.116:                              ;   in Loop: Header=BB13_18 Depth=1
	v_mbcnt_lo_u32_b32 v0, exec_lo, 0
	v_mbcnt_hi_u32_b32 v0, exec_hi, v0
	v_cmp_eq_u32_e32 vcc, 0, v0
	s_and_b64 exec, exec, vcc
	s_cbranch_execz .LBB13_118
; %bb.117:                              ;   in Loop: Header=BB13_18 Depth=1
	v_mov_b32_e32 v0, s44
	ds_or_b32 v31, v0 offset:16640
.LBB13_118:                             ;   in Loop: Header=BB13_18 Depth=1
	s_or_b64 exec, exec, s[4:5]
	s_waitcnt lgkmcnt(0)
	s_barrier
	ds_read_b32 v0, v31 offset:16640
	s_waitcnt lgkmcnt(0)
	s_barrier
.LBB13_119:                             ;   in Loop: Header=BB13_18 Depth=1
	v_cmp_eq_u32_e32 vcc, 0, v0
	s_cbranch_vccnz .LBB13_123
; %bb.120:                              ;   in Loop: Header=BB13_18 Depth=1
	s_and_saveexec_b64 s[4:5], s[22:23]
	s_cbranch_execz .LBB13_122
; %bb.121:                              ;   in Loop: Header=BB13_18 Depth=1
	s_add_i32 s44, s92, 1
	v_pk_mov_b32 v[0:1], s[26:27], s[26:27] op_sel:[0,1]
	v_mov_b32_e32 v2, s44
	buffer_wbl2
	flat_store_dword v[0:1], v2 offset:640
.LBB13_122:                             ;   in Loop: Header=BB13_18 Depth=1
	s_or_b64 exec, exec, s[4:5]
	s_cbranch_execz .LBB13_124
	s_branch .LBB13_129
.LBB13_123:                             ;   in Loop: Header=BB13_18 Depth=1
.LBB13_124:                             ;   in Loop: Header=BB13_18 Depth=1
	s_and_saveexec_b64 s[4:5], s[22:23]
	s_cbranch_execz .LBB13_128
; %bb.125:                              ;   in Loop: Header=BB13_18 Depth=1
	v_pk_mov_b32 v[0:1], s[26:27], s[26:27] op_sel:[0,1]
	flat_load_dword v0, v[0:1] offset:640 glc
	s_waitcnt vmcnt(0) lgkmcnt(0)
	buffer_invl2
	buffer_wbinvl1_vol
	v_cmp_ge_u32_e32 vcc, s92, v0
	s_and_b64 exec, exec, vcc
	s_cbranch_execz .LBB13_128
; %bb.126:                              ;   in Loop: Header=BB13_18 Depth=1
	s_mov_b64 s[52:53], 0
.LBB13_127:                             ;   Parent Loop BB13_18 Depth=1
                                        ; =>  This Inner Loop Header: Depth=2
	v_pk_mov_b32 v[0:1], s[26:27], s[26:27] op_sel:[0,1]
	s_sleep 1
	flat_load_dword v0, v[0:1] offset:640 glc
	s_waitcnt vmcnt(0) lgkmcnt(0)
	buffer_invl2
	buffer_wbinvl1_vol
	v_readfirstlane_b32 s44, v0
	s_cmp_gt_u32 s44, s92
	s_cselect_b64 s[54:55], -1, 0
	s_and_b64 s[54:55], exec, s[54:55]
	s_or_b64 s[52:53], s[54:55], s[52:53]
	s_andn2_b64 exec, exec, s[52:53]
	s_cbranch_execnz .LBB13_127
.LBB13_128:                             ;   in Loop: Header=BB13_18 Depth=1
	s_or_b64 exec, exec, s[4:5]
	s_waitcnt lgkmcnt(0)
	s_barrier
.LBB13_129:                             ;   in Loop: Header=BB13_18 Depth=1
	s_mov_b64 s[52:53], -1
	v_mov_b32_e32 v2, v28
	v_pk_mov_b32 v[0:1], v[32:33], v[32:33] op_sel:[0,1]
	v_mov_b32_e32 v3, v32
	s_and_saveexec_b64 s[4:5], s[48:49]
	s_cbranch_execz .LBB13_140
; %bb.130:                              ;   in Loop: Header=BB13_18 Depth=1
	s_lshl_b32 s44, s92, 11
	s_lshl_b64 s[52:53], s[44:45], 2
	s_add_u32 s44, s42, s52
	s_addc_u32 s56, s43, s53
	v_mov_b32_e32 v5, 0
	s_and_saveexec_b64 s[52:53], s[14:15]
	s_cbranch_execz .LBB13_134
; %bb.131:                              ;   in Loop: Header=BB13_18 Depth=1
	s_mov_b32 s57, 0
	s_mov_b64 s[54:55], 0
	v_mov_b32_e32 v2, v57
	v_mov_b32_e32 v3, v34
	v_pk_mov_b32 v[0:1], v[40:41], v[40:41] op_sel:[0,1]
	v_mov_b32_e32 v4, v28
.LBB13_132:                             ;   Parent Loop BB13_18 Depth=1
                                        ; =>  This Inner Loop Header: Depth=2
	v_add_u32_e32 v30, s80, v4
	v_lshlrev_b64 v[8:9], 2, v[30:31]
	v_mov_b32_e32 v5, s56
	v_add_u32_e32 v30, s83, v4
	v_add_co_u32_e32 v8, vcc, s44, v8
	v_addc_co_u32_e32 v9, vcc, v5, v9, vcc
	v_lshlrev_b64 v[10:11], 2, v[30:31]
	v_add_u32_e32 v30, s86, v4
	v_add_co_u32_e32 v10, vcc, s44, v10
	v_addc_co_u32_e32 v11, vcc, v5, v11, vcc
	v_lshlrev_b64 v[44:45], 2, v[30:31]
	v_add_u32_e32 v30, s82, v4
	v_add_co_u32_e32 v44, vcc, s44, v44
	v_addc_co_u32_e32 v45, vcc, v5, v45, vcc
	v_lshlrev_b64 v[46:47], 2, v[30:31]
	v_add_u32_e32 v30, s87, v4
	v_add_co_u32_e32 v46, vcc, s44, v46
	v_addc_co_u32_e32 v47, vcc, v5, v47, vcc
	v_lshlrev_b64 v[48:49], 2, v[30:31]
	v_add_u32_e32 v30, s88, v4
	v_add_co_u32_e32 v48, vcc, s44, v48
	v_addc_co_u32_e32 v49, vcc, v5, v49, vcc
	v_lshlrev_b64 v[50:51], 2, v[30:31]
	v_add_u32_e32 v30, s89, v4
	v_add_co_u32_e32 v50, vcc, s44, v50
	v_addc_co_u32_e32 v51, vcc, v5, v51, vcc
	v_lshlrev_b64 v[64:65], 2, v[30:31]
	v_add_co_u32_e32 v64, vcc, s44, v64
	global_load_dwordx2 v[6:7], v[0:1], off
	v_addc_co_u32_e32 v65, vcc, v5, v65, vcc
	global_load_dwordx2 v[8:9], v[8:9], off
	s_nop 0
	global_load_dwordx2 v[10:11], v[10:11], off
	s_nop 0
	global_load_dwordx2 v[44:45], v[44:45], off
	s_nop 0
	global_load_dwordx2 v[46:47], v[46:47], off
	v_add_u32_e32 v30, s82, v3
	global_load_dwordx2 v[48:49], v[48:49], off
	s_nop 0
	global_load_dwordx2 v[50:51], v[50:51], off
	s_nop 0
	global_load_dwordx2 v[64:65], v[64:65], off
	v_add_u32_e32 v39, s82, v30
	v_mov_b32_e32 v5, s90
	v_add_co_u32_e32 v0, vcc, s81, v0
	v_add_u32_e32 v43, s82, v39
	v_add_u32_e32 v2, -8, v2
	v_addc_co_u32_e32 v1, vcc, v1, v5, vcc
	v_add_u32_e32 v66, s82, v43
	s_add_i32 s57, s57, 16
	v_cmp_eq_u32_e32 vcc, 0, v2
	v_add_u32_e32 v67, s82, v66
	v_mov_b32_e32 v5, s57
	s_or_b64 s[54:55], vcc, s[54:55]
	v_add_u32_e32 v68, s82, v67
	v_add_u32_e32 v4, s85, v4
	;; [unrolled: 1-line block ×3, first 2 shown]
	s_waitcnt vmcnt(0)
	ds_write2_b32 v3, v6, v7 offset1:1
	v_add_u32_e32 v3, s81, v3
	ds_write2_b32 v30, v8, v9 offset1:1
	ds_write2_b32 v39, v10, v11 offset1:1
	;; [unrolled: 1-line block ×7, first 2 shown]
	s_andn2_b64 exec, exec, s[54:55]
	s_cbranch_execnz .LBB13_132
; %bb.133:                              ;   in Loop: Header=BB13_18 Depth=1
	s_or_b64 exec, exec, s[54:55]
.LBB13_134:                             ;   in Loop: Header=BB13_18 Depth=1
	s_or_b64 exec, exec, s[52:53]
	s_and_saveexec_b64 s[52:53], s[16:17]
	s_cbranch_execz .LBB13_137
; %bb.135:                              ;   in Loop: Header=BB13_18 Depth=1
	v_add_u32_e32 v30, v28, v5
	v_lshl_add_u32 v0, v30, 2, v63
	s_mov_b64 s[54:55], 0
	v_mov_b32_e32 v1, v56
.LBB13_136:                             ;   Parent Loop BB13_18 Depth=1
                                        ; =>  This Inner Loop Header: Depth=2
	v_lshlrev_b64 v[2:3], 2, v[30:31]
	v_mov_b32_e32 v4, s56
	v_add_co_u32_e32 v2, vcc, s44, v2
	v_addc_co_u32_e32 v3, vcc, v4, v3, vcc
	global_load_dwordx2 v[2:3], v[2:3], off
	v_add_u32_e32 v1, -1, v1
	v_cmp_eq_u32_e32 vcc, 0, v1
	v_add_u32_e32 v30, s80, v30
	s_or_b64 s[54:55], vcc, s[54:55]
	s_waitcnt vmcnt(0)
	ds_write2_b32 v0, v2, v3 offset1:1
	v_add_u32_e32 v0, s82, v0
	s_andn2_b64 exec, exec, s[54:55]
	s_cbranch_execnz .LBB13_136
.LBB13_137:                             ;   in Loop: Header=BB13_18 Depth=1
	s_or_b64 exec, exec, s[52:53]
	s_mov_b64 s[52:53], 0
                                        ; implicit-def: $vgpr0_vgpr1
                                        ; implicit-def: $vgpr3
	s_and_saveexec_b64 s[54:55], s[18:19]
	s_xor_b64 s[54:55], exec, s[54:55]
; %bb.138:                              ;   in Loop: Header=BB13_18 Depth=1
	v_mov_b32_e32 v39, v31
	s_mov_b64 s[52:53], exec
	v_lshlrev_b64 v[0:1], 2, v[38:39]
	v_lshlrev_b32_e32 v3, 2, v38
; %bb.139:                              ;   in Loop: Header=BB13_18 Depth=1
	s_or_b64 exec, exec, s[54:55]
	s_orn2_b64 s[52:53], s[52:53], exec
	v_mov_b32_e32 v2, v38
.LBB13_140:                             ;   in Loop: Header=BB13_18 Depth=1
	s_or_b64 exec, exec, s[4:5]
	s_and_saveexec_b64 s[4:5], s[52:53]
	s_cbranch_execz .LBB13_143
; %bb.141:                              ;   in Loop: Header=BB13_18 Depth=1
	v_mov_b32_e32 v4, s51
	v_add_co_u32_e32 v0, vcc, s50, v0
	v_addc_co_u32_e32 v1, vcc, v4, v1, vcc
	v_add_u32_e32 v3, 0x2100, v3
	s_mov_b64 s[52:53], 0
.LBB13_142:                             ;   Parent Loop BB13_18 Depth=1
                                        ; =>  This Inner Loop Header: Depth=2
	global_load_dword v4, v[0:1], off
	v_mov_b32_e32 v5, s84
	v_add_co_u32_e32 v0, vcc, s83, v0
	v_add_u32_e32 v2, s73, v2
	v_addc_co_u32_e32 v1, vcc, v1, v5, vcc
	v_cmp_lt_u32_e32 vcc, s91, v2
	s_or_b64 s[52:53], vcc, s[52:53]
	s_waitcnt vmcnt(0)
	ds_write_b32 v3, v4
	v_add_u32_e32 v3, s83, v3
	s_andn2_b64 exec, exec, s[52:53]
	s_cbranch_execnz .LBB13_142
.LBB13_143:                             ;   in Loop: Header=BB13_18 Depth=1
	s_or_b64 exec, exec, s[4:5]
	s_waitcnt lgkmcnt(0)
	s_barrier
	flat_load_dword v0, v[34:35] glc
	s_waitcnt vmcnt(0)
	flat_load_dword v1, v[36:37] glc
	s_waitcnt vmcnt(0) lgkmcnt(0)
	ds_write_b32 v29, v0
	ds_write_b32 v52, v1 offset:4096
	s_waitcnt lgkmcnt(0)
	s_barrier
	ds_read2_b32 v[0:1], v53 offset1:1
	s_waitcnt lgkmcnt(0)
	s_barrier
	v_add_u32_e32 v2, v1, v0
	ds_write_b32 v29, v2
	s_waitcnt lgkmcnt(0)
	s_barrier
	s_and_saveexec_b64 s[4:5], s[10:11]
	s_cbranch_execz .LBB13_145
; %bb.144:                              ;   in Loop: Header=BB13_18 Depth=1
	ds_read2_b32 v[4:5], v54 offset1:1
	ds_read2_b32 v[6:7], v54 offset0:2 offset1:3
	ds_read2_b32 v[8:9], v54 offset0:4 offset1:5
	;; [unrolled: 1-line block ×7, first 2 shown]
	s_waitcnt lgkmcnt(7)
	v_add_u32_e32 v3, v5, v4
	s_waitcnt lgkmcnt(6)
	v_add3_u32 v3, v3, v6, v7
	s_waitcnt lgkmcnt(5)
	v_add3_u32 v3, v3, v8, v9
	s_waitcnt lgkmcnt(4)
	v_add3_u32 v3, v3, v10, v11
	s_waitcnt lgkmcnt(3)
	v_add3_u32 v3, v3, v44, v45
	s_waitcnt lgkmcnt(2)
	v_add3_u32 v3, v3, v46, v47
	s_waitcnt lgkmcnt(1)
	v_add3_u32 v3, v3, v48, v49
	s_waitcnt lgkmcnt(0)
	v_add3_u32 v3, v3, v50, v51
	v_and_b32_e32 v30, 15, v62
	v_cmp_ne_u32_e32 vcc, 0, v30
	v_mov_b32_dpp v39, v3 row_shr:1 row_mask:0xf bank_mask:0xf
	v_cndmask_b32_e32 v39, 0, v39, vcc
	v_add_u32_e32 v3, v39, v3
	v_cmp_lt_u32_e32 vcc, 1, v30
	s_nop 0
	v_mov_b32_dpp v39, v3 row_shr:2 row_mask:0xf bank_mask:0xf
	v_cndmask_b32_e32 v39, 0, v39, vcc
	v_add_u32_e32 v3, v3, v39
	v_cmp_lt_u32_e32 vcc, 3, v30
	s_nop 0
	;; [unrolled: 5-line block ×3, first 2 shown]
	v_mov_b32_dpp v39, v3 row_shr:8 row_mask:0xf bank_mask:0xf
	v_cndmask_b32_e32 v30, 0, v39, vcc
	v_add_u32_e32 v3, v3, v30
	v_bfe_i32 v39, v62, 4, 1
	v_cmp_lt_u32_e32 vcc, 31, v62
	v_mov_b32_dpp v30, v3 row_bcast:15 row_mask:0xf bank_mask:0xf
	v_and_b32_e32 v30, v39, v30
	v_add_u32_e32 v3, v3, v30
	v_and_b32_e32 v39, 64, v62
	s_nop 0
	v_mov_b32_dpp v30, v3 row_bcast:31 row_mask:0xf bank_mask:0xf
	v_cndmask_b32_e32 v30, 0, v30, vcc
	v_add_u32_e32 v3, v3, v30
	v_add_u32_e32 v30, -1, v62
	v_cmp_lt_i32_e32 vcc, v30, v39
	v_cndmask_b32_e32 v30, v30, v62, vcc
	v_lshlrev_b32_e32 v30, 2, v30
	ds_bpermute_b32 v3, v30, v3
	s_waitcnt lgkmcnt(0)
	v_add_u32_e32 v3, v3, v4
	v_cndmask_b32_e64 v2, v3, v2, s[22:23]
	v_add_u32_e32 v3, v2, v5
	ds_write2_b32 v54, v2, v3 offset1:1
	v_add_u32_e32 v2, v3, v6
	v_add_u32_e32 v3, v2, v7
	ds_write2_b32 v54, v2, v3 offset0:2 offset1:3
	v_add_u32_e32 v2, v3, v8
	v_add_u32_e32 v3, v2, v9
	ds_write2_b32 v54, v2, v3 offset0:4 offset1:5
	;; [unrolled: 3-line block ×7, first 2 shown]
.LBB13_145:                             ;   in Loop: Header=BB13_18 Depth=1
	s_or_b64 exec, exec, s[4:5]
	v_mov_b32_e32 v2, 0
	s_waitcnt lgkmcnt(0)
	s_barrier
	s_and_saveexec_b64 s[4:5], s[20:21]
	s_cbranch_execz .LBB13_147
; %bb.146:                              ;   in Loop: Header=BB13_18 Depth=1
	ds_read_b32 v2, v55
.LBB13_147:                             ;   in Loop: Header=BB13_18 Depth=1
	s_or_b64 exec, exec, s[4:5]
	s_waitcnt lgkmcnt(0)
	v_add_u32_e32 v0, v2, v0
	v_add_u32_e32 v1, v0, v1
	s_barrier
	ds_write2_b32 v53, v0, v1 offset1:1
	s_waitcnt lgkmcnt(0)
	s_barrier
	ds_read_b32 v0, v29
	ds_read_b32 v1, v52 offset:4096
	s_waitcnt lgkmcnt(1)
	flat_store_dword v[34:35], v0
	s_waitcnt vmcnt(0) lgkmcnt(0)
	flat_store_dword v[36:37], v1
	s_waitcnt vmcnt(0) lgkmcnt(0)
	s_barrier
	ds_read_b32 v0, v31 offset:16896
	s_mov_b64 s[52:53], 0
	v_mov_b32_e32 v3, v58
	v_mov_b32_e32 v4, v28
	s_branch .LBB13_149
.LBB13_148:                             ;   in Loop: Header=BB13_149 Depth=2
	s_or_b64 exec, exec, s[4:5]
	v_add_u32_e32 v4, s73, v4
	v_cmp_lt_u32_e32 vcc, s91, v4
	s_or_b64 s[52:53], vcc, s[52:53]
	v_add_u32_e32 v3, s83, v3
	s_andn2_b64 exec, exec, s[52:53]
	s_cbranch_execz .LBB13_153
.LBB13_149:                             ;   Parent Loop BB13_18 Depth=1
                                        ; =>  This Inner Loop Header: Depth=2
	v_cmp_ne_u32_e32 vcc, 0, v4
	v_mov_b32_e32 v2, 0
	s_and_saveexec_b64 s[4:5], vcc
	s_cbranch_execz .LBB13_151
; %bb.150:                              ;   in Loop: Header=BB13_149 Depth=2
	ds_read_b32 v2, v3
.LBB13_151:                             ;   in Loop: Header=BB13_149 Depth=2
	s_or_b64 exec, exec, s[4:5]
	ds_read_b32 v5, v3 offset:4
	s_waitcnt lgkmcnt(1)
	v_cmp_gt_i32_e32 vcc, v42, v2
	s_waitcnt lgkmcnt(0)
	v_cmp_ge_i32_e64 s[4:5], v5, v42
	s_and_b64 s[54:55], vcc, s[4:5]
	s_and_saveexec_b64 s[4:5], s[54:55]
	s_cbranch_execz .LBB13_148
; %bb.152:                              ;   in Loop: Header=BB13_149 Depth=2
	v_sub_u32_e32 v1, v42, v2
	v_sub_u32_e32 v2, v5, v2
	v_lshl_or_b32 v0, v4, s58, v0
	ds_write_b96 v31, v[0:2] offset:16896
	s_branch .LBB13_148
.LBB13_153:                             ;   in Loop: Header=BB13_18 Depth=1
	s_or_b64 exec, exec, s[52:53]
	s_cmp_eq_u32 s92, 2
	s_waitcnt lgkmcnt(0)
	s_barrier
	s_cbranch_scc0 .LBB13_518
; %bb.154:                              ;   in Loop: Header=BB13_18 Depth=1
	ds_read_b64 v[42:43], v31 offset:16896
	s_and_saveexec_b64 s[4:5], s[12:13]
	s_cbranch_execz .LBB13_157
; %bb.155:                              ;   in Loop: Header=BB13_18 Depth=1
	s_waitcnt lgkmcnt(0)
	global_store_dword v31, v43, s[26:27]
	global_store_dword v31, v42, s[26:27] offset:12
	s_or_b64 exec, exec, s[4:5]
	v_mov_b32_e32 v44, v14
	s_and_saveexec_b64 s[4:5], s[8:9]
	s_cbranch_execnz .LBB13_158
.LBB13_156:                             ;   in Loop: Header=BB13_18 Depth=1
	s_or_b64 exec, exec, s[4:5]
	v_cmp_gt_i32_e32 vcc, s30, v44
	s_and_saveexec_b64 s[4:5], vcc
	s_cbranch_execnz .LBB13_417
	s_branch .LBB13_483
.LBB13_157:                             ;   in Loop: Header=BB13_18 Depth=1
	s_or_b64 exec, exec, s[4:5]
	v_mov_b32_e32 v44, v14
	s_and_saveexec_b64 s[4:5], s[8:9]
	s_cbranch_execz .LBB13_156
.LBB13_158:                             ;   in Loop: Header=BB13_18 Depth=1
	s_mov_b64 s[52:53], 0
	v_pk_mov_b32 v[46:47], v[26:27], v[26:27] op_sel:[0,1]
	v_pk_mov_b32 v[44:45], v[24:25], v[24:25] op_sel:[0,1]
	s_branch .LBB13_160
.LBB13_159:                             ;   in Loop: Header=BB13_160 Depth=2
	s_or_b64 exec, exec, s[56:57]
	v_add_u32_e32 v44, s65, v44
	v_ashrrev_i32_e32 v45, 31, v44
	v_mov_b32_e32 v0, s71
	v_add_co_u32_e32 v46, vcc, s72, v44
	v_addc_co_u32_e32 v47, vcc, v0, v45, vcc
	v_cmp_le_u64_e32 vcc, s[30:31], v[46:47]
	s_or_b64 s[52:53], vcc, s[52:53]
	s_andn2_b64 exec, exec, s[52:53]
	s_cbranch_execz .LBB13_416
.LBB13_160:                             ;   Parent Loop BB13_18 Depth=1
                                        ; =>  This Inner Loop Header: Depth=2
	v_lshlrev_b64 v[0:1], 4, v[44:45]
	s_waitcnt vmcnt(0)
	v_mov_b32_e32 v2, s70
	v_add_co_u32_e32 v4, vcc, s64, v0
	v_addc_co_u32_e32 v5, vcc, v2, v1, vcc
	global_load_dwordx4 v[0:3], v[4:5], off
	v_mov_b32_e32 v6, s37
	v_add_co_u32_e32 v8, vcc, s36, v4
	v_addc_co_u32_e32 v9, vcc, v5, v6, vcc
	global_load_dwordx4 v[4:7], v[8:9], off
	v_lshl_add_u32 v10, v44, 2, s34
	s_mov_b64 s[58:59], 0
	s_mov_b64 s[54:55], 0
                                        ; implicit-def: $vgpr48
	s_waitcnt vmcnt(1)
	v_cmp_gt_i32_e32 vcc, 0, v0
	v_cndmask_b32_e64 v11, v61, 0, vcc
	v_xor_b32_e32 v11, v11, v0
	s_waitcnt lgkmcnt(0)
	v_cmp_ge_u32_e32 vcc, v11, v42
                                        ; implicit-def: $vgpr0
	s_and_saveexec_b64 s[56:57], vcc
	s_xor_b64 s[56:57], exec, s[56:57]
	s_cbranch_execz .LBB13_170
; %bb.161:                              ;   in Loop: Header=BB13_160 Depth=2
	v_cmp_eq_u32_e32 vcc, v11, v42
	s_mov_b64 s[60:61], 0
                                        ; implicit-def: $vgpr48
	s_and_saveexec_b64 s[54:55], vcc
	s_cbranch_execz .LBB13_167
; %bb.162:                              ;   in Loop: Header=BB13_160 Depth=2
	s_mov_b64 s[60:61], exec
	v_mbcnt_lo_u32_b32 v0, s60, 0
	v_mbcnt_hi_u32_b32 v0, s61, v0
	v_cmp_eq_u32_e32 vcc, 0, v0
                                        ; implicit-def: $vgpr11
	s_and_saveexec_b64 s[58:59], vcc
	s_cbranch_execz .LBB13_164
; %bb.163:                              ;   in Loop: Header=BB13_160 Depth=2
	s_bcnt1_i32_b64 s44, s[60:61]
	v_mov_b32_e32 v11, s44
	global_atomic_add v11, v31, v11, s[26:27] offset:512 glc
.LBB13_164:                             ;   in Loop: Header=BB13_160 Depth=2
	s_or_b64 exec, exec, s[58:59]
	s_waitcnt vmcnt(0)
	v_readfirstlane_b32 s44, v11
	v_add_u32_e32 v0, s44, v0
	v_cmp_lt_i32_e32 vcc, v0, v43
	s_mov_b64 s[58:59], 0
	s_mov_b64 s[60:61], 0
                                        ; implicit-def: $vgpr48
	s_and_saveexec_b64 s[62:63], vcc
	s_xor_b64 s[62:63], exec, s[62:63]
; %bb.165:                              ;   in Loop: Header=BB13_160 Depth=2
	v_xad_u32 v48, v0, -1, s38
	s_and_b64 s[60:61], s[46:47], exec
	s_and_b64 s[58:59], s[6:7], exec
; %bb.166:                              ;   in Loop: Header=BB13_160 Depth=2
	s_or_b64 exec, exec, s[62:63]
	s_and_b64 s[60:61], s[60:61], exec
	s_and_b64 s[58:59], s[58:59], exec
.LBB13_167:                             ;   in Loop: Header=BB13_160 Depth=2
	s_or_b64 exec, exec, s[54:55]
	s_and_b64 s[54:55], s[60:61], exec
	s_and_b64 s[58:59], s[58:59], exec
	v_mov_b32_e32 v0, v10
	s_andn2_saveexec_b64 s[56:57], s[56:57]
	s_cbranch_execnz .LBB13_171
.LBB13_168:                             ;   in Loop: Header=BB13_160 Depth=2
	s_or_b64 exec, exec, s[56:57]
	v_ashrrev_i32_e32 v11, 31, v10
	s_and_saveexec_b64 s[56:57], s[58:59]
	s_cbranch_execz .LBB13_174
.LBB13_169:                             ;   in Loop: Header=BB13_160 Depth=2
	v_lshlrev_b64 v[50:51], 2, v[10:11]
	v_mov_b32_e32 v0, s25
	v_add_co_u32_e32 v50, vcc, s24, v50
	v_addc_co_u32_e32 v51, vcc, v0, v51, vcc
	global_load_dword v0, v[50:51], off
	s_or_b64 s[54:55], s[54:55], exec
	s_or_b64 exec, exec, s[56:57]
	s_and_saveexec_b64 s[56:57], s[54:55]
	s_cbranch_execnz .LBB13_175
	s_branch .LBB13_176
.LBB13_170:                             ;   in Loop: Header=BB13_160 Depth=2
	s_andn2_saveexec_b64 s[56:57], s[56:57]
	s_cbranch_execz .LBB13_168
.LBB13_171:                             ;   in Loop: Header=BB13_160 Depth=2
	s_mov_b64 s[62:63], exec
	v_mbcnt_lo_u32_b32 v0, s62, 0
	v_mbcnt_hi_u32_b32 v0, s63, v0
	v_cmp_eq_u32_e32 vcc, 0, v0
                                        ; implicit-def: $vgpr11
	s_and_saveexec_b64 s[60:61], vcc
	s_cbranch_execz .LBB13_173
; %bb.172:                              ;   in Loop: Header=BB13_160 Depth=2
	s_bcnt1_i32_b64 s44, s[62:63]
	v_mov_b32_e32 v11, s44
	global_atomic_add v11, v31, v11, s[26:27] offset:384 glc
.LBB13_173:                             ;   in Loop: Header=BB13_160 Depth=2
	s_or_b64 exec, exec, s[60:61]
	s_andn2_b64 s[54:55], s[54:55], exec
	s_and_b64 s[60:61], s[46:47], exec
	s_waitcnt vmcnt(0)
	v_readfirstlane_b32 s44, v11
	s_or_b64 s[54:55], s[54:55], s[60:61]
	s_andn2_b64 s[58:59], s[58:59], exec
	s_and_b64 s[60:61], s[6:7], exec
	v_add_u32_e32 v48, s44, v0
	s_or_b64 s[58:59], s[58:59], s[60:61]
	v_mov_b32_e32 v0, v10
	s_or_b64 exec, exec, s[56:57]
	v_ashrrev_i32_e32 v11, 31, v10
	s_and_saveexec_b64 s[56:57], s[58:59]
	s_cbranch_execnz .LBB13_169
.LBB13_174:                             ;   in Loop: Header=BB13_160 Depth=2
	s_or_b64 exec, exec, s[56:57]
	s_and_saveexec_b64 s[56:57], s[54:55]
	s_cbranch_execz .LBB13_176
.LBB13_175:                             ;   in Loop: Header=BB13_160 Depth=2
	v_ashrrev_i32_e32 v49, 31, v48
	v_lshlrev_b64 v[48:49], 2, v[48:49]
	v_mov_b32_e32 v30, s39
	v_add_co_u32_e32 v48, vcc, s33, v48
	v_addc_co_u32_e32 v49, vcc, v30, v49, vcc
	s_waitcnt vmcnt(0)
	global_store_dword v[48:49], v0, off
.LBB13_176:                             ;   in Loop: Header=BB13_160 Depth=2
	s_or_b64 exec, exec, s[56:57]
	v_cmp_gt_i32_e32 vcc, 0, v1
	s_waitcnt vmcnt(0)
	v_cndmask_b32_e64 v0, v61, 0, vcc
	v_xor_b32_e32 v1, v0, v1
	v_add_u32_e32 v30, 1, v10
	v_cmp_ge_u32_e32 vcc, v1, v42
	s_mov_b64 s[58:59], 0
	s_mov_b64 s[54:55], 0
                                        ; implicit-def: $vgpr0
	s_and_saveexec_b64 s[56:57], vcc
	s_xor_b64 s[56:57], exec, s[56:57]
	s_cbranch_execz .LBB13_186
; %bb.177:                              ;   in Loop: Header=BB13_160 Depth=2
	v_cmp_eq_u32_e32 vcc, v1, v42
	s_mov_b64 s[60:61], 0
                                        ; implicit-def: $vgpr0
	s_and_saveexec_b64 s[54:55], vcc
	s_cbranch_execz .LBB13_183
; %bb.178:                              ;   in Loop: Header=BB13_160 Depth=2
	s_mov_b64 s[60:61], exec
	v_mbcnt_lo_u32_b32 v0, s60, 0
	v_mbcnt_hi_u32_b32 v0, s61, v0
	v_cmp_eq_u32_e32 vcc, 0, v0
                                        ; implicit-def: $vgpr1
	s_and_saveexec_b64 s[58:59], vcc
	s_cbranch_execz .LBB13_180
; %bb.179:                              ;   in Loop: Header=BB13_160 Depth=2
	s_bcnt1_i32_b64 s44, s[60:61]
	v_mov_b32_e32 v1, s44
	global_atomic_add v1, v31, v1, s[26:27] offset:512 glc
.LBB13_180:                             ;   in Loop: Header=BB13_160 Depth=2
	s_or_b64 exec, exec, s[58:59]
	s_waitcnt vmcnt(0)
	v_readfirstlane_b32 s44, v1
	v_add_u32_e32 v1, s44, v0
	v_cmp_lt_i32_e32 vcc, v1, v43
	s_mov_b64 s[58:59], 0
	s_mov_b64 s[60:61], 0
                                        ; implicit-def: $vgpr0
	s_and_saveexec_b64 s[62:63], vcc
; %bb.181:                              ;   in Loop: Header=BB13_160 Depth=2
	v_xad_u32 v0, v1, -1, s38
	s_and_b64 s[60:61], s[46:47], exec
	s_and_b64 s[58:59], s[6:7], exec
; %bb.182:                              ;   in Loop: Header=BB13_160 Depth=2
	s_or_b64 exec, exec, s[62:63]
	s_and_b64 s[60:61], s[60:61], exec
	s_and_b64 s[58:59], s[58:59], exec
.LBB13_183:                             ;   in Loop: Header=BB13_160 Depth=2
	s_or_b64 exec, exec, s[54:55]
	s_and_b64 s[54:55], s[60:61], exec
	s_and_b64 s[58:59], s[58:59], exec
	s_andn2_saveexec_b64 s[56:57], s[56:57]
	s_cbranch_execnz .LBB13_187
.LBB13_184:                             ;   in Loop: Header=BB13_160 Depth=2
	s_or_b64 exec, exec, s[56:57]
	s_and_saveexec_b64 s[56:57], s[58:59]
	s_cbranch_execz .LBB13_190
.LBB13_185:                             ;   in Loop: Header=BB13_160 Depth=2
	v_lshlrev_b64 v[48:49], 2, v[10:11]
	v_mov_b32_e32 v1, s35
	v_add_co_u32_e32 v48, vcc, s29, v48
	v_addc_co_u32_e32 v49, vcc, v1, v49, vcc
	global_load_dword v30, v[48:49], off
	s_or_b64 s[54:55], s[54:55], exec
	s_or_b64 exec, exec, s[56:57]
	s_and_saveexec_b64 s[56:57], s[54:55]
	s_cbranch_execnz .LBB13_191
	s_branch .LBB13_192
.LBB13_186:                             ;   in Loop: Header=BB13_160 Depth=2
	s_andn2_saveexec_b64 s[56:57], s[56:57]
	s_cbranch_execz .LBB13_184
.LBB13_187:                             ;   in Loop: Header=BB13_160 Depth=2
	s_mov_b64 s[62:63], exec
	v_mbcnt_lo_u32_b32 v0, s62, 0
	v_mbcnt_hi_u32_b32 v0, s63, v0
	v_cmp_eq_u32_e32 vcc, 0, v0
                                        ; implicit-def: $vgpr1
	s_and_saveexec_b64 s[60:61], vcc
	s_cbranch_execz .LBB13_189
; %bb.188:                              ;   in Loop: Header=BB13_160 Depth=2
	s_bcnt1_i32_b64 s44, s[62:63]
	v_mov_b32_e32 v1, s44
	global_atomic_add v1, v31, v1, s[26:27] offset:384 glc
.LBB13_189:                             ;   in Loop: Header=BB13_160 Depth=2
	s_or_b64 exec, exec, s[60:61]
	s_andn2_b64 s[54:55], s[54:55], exec
	s_and_b64 s[60:61], s[46:47], exec
	s_waitcnt vmcnt(0)
	v_readfirstlane_b32 s44, v1
	s_or_b64 s[54:55], s[54:55], s[60:61]
	s_andn2_b64 s[58:59], s[58:59], exec
	s_and_b64 s[60:61], s[6:7], exec
	v_add_u32_e32 v0, s44, v0
	s_or_b64 s[58:59], s[58:59], s[60:61]
	s_or_b64 exec, exec, s[56:57]
	s_and_saveexec_b64 s[56:57], s[58:59]
	s_cbranch_execnz .LBB13_185
.LBB13_190:                             ;   in Loop: Header=BB13_160 Depth=2
	s_or_b64 exec, exec, s[56:57]
	s_and_saveexec_b64 s[56:57], s[54:55]
	s_cbranch_execz .LBB13_192
.LBB13_191:                             ;   in Loop: Header=BB13_160 Depth=2
	v_ashrrev_i32_e32 v1, 31, v0
	v_lshlrev_b64 v[0:1], 2, v[0:1]
	v_mov_b32_e32 v39, s39
	v_add_co_u32_e32 v0, vcc, s33, v0
	v_addc_co_u32_e32 v1, vcc, v39, v1, vcc
	s_waitcnt vmcnt(0)
	global_store_dword v[0:1], v30, off
.LBB13_192:                             ;   in Loop: Header=BB13_160 Depth=2
	s_or_b64 exec, exec, s[56:57]
	v_cmp_gt_i32_e32 vcc, 0, v2
	v_cndmask_b32_e64 v0, v61, 0, vcc
	v_xor_b32_e32 v1, v0, v2
	s_waitcnt vmcnt(0)
	v_add_u32_e32 v30, 2, v10
	v_cmp_ge_u32_e32 vcc, v1, v42
	s_mov_b64 s[58:59], 0
	s_mov_b64 s[54:55], 0
                                        ; implicit-def: $vgpr0
	s_and_saveexec_b64 s[56:57], vcc
	s_xor_b64 s[56:57], exec, s[56:57]
	s_cbranch_execz .LBB13_202
; %bb.193:                              ;   in Loop: Header=BB13_160 Depth=2
	v_cmp_eq_u32_e32 vcc, v1, v42
	s_mov_b64 s[60:61], 0
                                        ; implicit-def: $vgpr0
	s_and_saveexec_b64 s[54:55], vcc
	s_cbranch_execz .LBB13_199
; %bb.194:                              ;   in Loop: Header=BB13_160 Depth=2
	s_mov_b64 s[60:61], exec
	v_mbcnt_lo_u32_b32 v0, s60, 0
	v_mbcnt_hi_u32_b32 v0, s61, v0
	v_cmp_eq_u32_e32 vcc, 0, v0
                                        ; implicit-def: $vgpr1
	s_and_saveexec_b64 s[58:59], vcc
	s_cbranch_execz .LBB13_196
; %bb.195:                              ;   in Loop: Header=BB13_160 Depth=2
	s_bcnt1_i32_b64 s44, s[60:61]
	v_mov_b32_e32 v1, s44
	global_atomic_add v1, v31, v1, s[26:27] offset:512 glc
.LBB13_196:                             ;   in Loop: Header=BB13_160 Depth=2
	s_or_b64 exec, exec, s[58:59]
	s_waitcnt vmcnt(0)
	v_readfirstlane_b32 s44, v1
	v_add_u32_e32 v1, s44, v0
	v_cmp_lt_i32_e32 vcc, v1, v43
	s_mov_b64 s[58:59], 0
	s_mov_b64 s[60:61], 0
                                        ; implicit-def: $vgpr0
	s_and_saveexec_b64 s[62:63], vcc
; %bb.197:                              ;   in Loop: Header=BB13_160 Depth=2
	v_xad_u32 v0, v1, -1, s38
	s_and_b64 s[60:61], s[46:47], exec
	s_and_b64 s[58:59], s[6:7], exec
; %bb.198:                              ;   in Loop: Header=BB13_160 Depth=2
	s_or_b64 exec, exec, s[62:63]
	s_and_b64 s[60:61], s[60:61], exec
	s_and_b64 s[58:59], s[58:59], exec
.LBB13_199:                             ;   in Loop: Header=BB13_160 Depth=2
	s_or_b64 exec, exec, s[54:55]
	s_and_b64 s[54:55], s[60:61], exec
	s_and_b64 s[58:59], s[58:59], exec
	s_andn2_saveexec_b64 s[56:57], s[56:57]
	s_cbranch_execnz .LBB13_203
.LBB13_200:                             ;   in Loop: Header=BB13_160 Depth=2
	s_or_b64 exec, exec, s[56:57]
	s_and_saveexec_b64 s[56:57], s[58:59]
	s_cbranch_execz .LBB13_206
.LBB13_201:                             ;   in Loop: Header=BB13_160 Depth=2
	v_lshlrev_b64 v[48:49], 2, v[10:11]
	v_mov_b32_e32 v1, s67
	v_add_co_u32_e32 v48, vcc, s66, v48
	v_addc_co_u32_e32 v49, vcc, v1, v49, vcc
	global_load_dword v30, v[48:49], off
	s_or_b64 s[54:55], s[54:55], exec
	s_or_b64 exec, exec, s[56:57]
	s_and_saveexec_b64 s[56:57], s[54:55]
	s_cbranch_execnz .LBB13_207
	s_branch .LBB13_208
.LBB13_202:                             ;   in Loop: Header=BB13_160 Depth=2
	s_andn2_saveexec_b64 s[56:57], s[56:57]
	s_cbranch_execz .LBB13_200
.LBB13_203:                             ;   in Loop: Header=BB13_160 Depth=2
	s_mov_b64 s[62:63], exec
	v_mbcnt_lo_u32_b32 v0, s62, 0
	v_mbcnt_hi_u32_b32 v0, s63, v0
	v_cmp_eq_u32_e32 vcc, 0, v0
                                        ; implicit-def: $vgpr1
	s_and_saveexec_b64 s[60:61], vcc
	s_cbranch_execz .LBB13_205
; %bb.204:                              ;   in Loop: Header=BB13_160 Depth=2
	s_bcnt1_i32_b64 s44, s[62:63]
	v_mov_b32_e32 v1, s44
	global_atomic_add v1, v31, v1, s[26:27] offset:384 glc
.LBB13_205:                             ;   in Loop: Header=BB13_160 Depth=2
	s_or_b64 exec, exec, s[60:61]
	s_andn2_b64 s[54:55], s[54:55], exec
	s_and_b64 s[60:61], s[46:47], exec
	s_waitcnt vmcnt(0)
	v_readfirstlane_b32 s44, v1
	s_or_b64 s[54:55], s[54:55], s[60:61]
	s_andn2_b64 s[58:59], s[58:59], exec
	s_and_b64 s[60:61], s[6:7], exec
	v_add_u32_e32 v0, s44, v0
	s_or_b64 s[58:59], s[58:59], s[60:61]
	s_or_b64 exec, exec, s[56:57]
	s_and_saveexec_b64 s[56:57], s[58:59]
	s_cbranch_execnz .LBB13_201
.LBB13_206:                             ;   in Loop: Header=BB13_160 Depth=2
	s_or_b64 exec, exec, s[56:57]
	s_and_saveexec_b64 s[56:57], s[54:55]
	s_cbranch_execz .LBB13_208
.LBB13_207:                             ;   in Loop: Header=BB13_160 Depth=2
	v_ashrrev_i32_e32 v1, 31, v0
	v_lshlrev_b64 v[0:1], 2, v[0:1]
	v_mov_b32_e32 v2, s39
	v_add_co_u32_e32 v0, vcc, s33, v0
	v_addc_co_u32_e32 v1, vcc, v2, v1, vcc
	s_waitcnt vmcnt(0)
	global_store_dword v[0:1], v30, off
.LBB13_208:                             ;   in Loop: Header=BB13_160 Depth=2
	s_or_b64 exec, exec, s[56:57]
	v_cmp_gt_i32_e32 vcc, 0, v3
	v_cndmask_b32_e64 v0, v61, 0, vcc
	v_xor_b32_e32 v1, v0, v3
	v_add_u32_e32 v2, 3, v10
	v_cmp_ge_u32_e32 vcc, v1, v42
	s_mov_b64 s[58:59], 0
	s_mov_b64 s[54:55], 0
                                        ; implicit-def: $vgpr0
	s_and_saveexec_b64 s[56:57], vcc
	s_xor_b64 s[56:57], exec, s[56:57]
	s_cbranch_execz .LBB13_218
; %bb.209:                              ;   in Loop: Header=BB13_160 Depth=2
	v_cmp_eq_u32_e32 vcc, v1, v42
	s_mov_b64 s[60:61], 0
                                        ; implicit-def: $vgpr0
	s_and_saveexec_b64 s[54:55], vcc
	s_cbranch_execz .LBB13_215
; %bb.210:                              ;   in Loop: Header=BB13_160 Depth=2
	s_mov_b64 s[60:61], exec
	v_mbcnt_lo_u32_b32 v0, s60, 0
	v_mbcnt_hi_u32_b32 v0, s61, v0
	v_cmp_eq_u32_e32 vcc, 0, v0
                                        ; implicit-def: $vgpr1
	s_and_saveexec_b64 s[58:59], vcc
	s_cbranch_execz .LBB13_212
; %bb.211:                              ;   in Loop: Header=BB13_160 Depth=2
	s_bcnt1_i32_b64 s44, s[60:61]
	v_mov_b32_e32 v1, s44
	global_atomic_add v1, v31, v1, s[26:27] offset:512 glc
.LBB13_212:                             ;   in Loop: Header=BB13_160 Depth=2
	s_or_b64 exec, exec, s[58:59]
	s_waitcnt vmcnt(0)
	v_readfirstlane_b32 s44, v1
	v_add_u32_e32 v1, s44, v0
	v_cmp_lt_i32_e32 vcc, v1, v43
	s_mov_b64 s[58:59], 0
	s_mov_b64 s[60:61], 0
                                        ; implicit-def: $vgpr0
	s_and_saveexec_b64 s[62:63], vcc
; %bb.213:                              ;   in Loop: Header=BB13_160 Depth=2
	v_xad_u32 v0, v1, -1, s38
	s_and_b64 s[60:61], s[46:47], exec
	s_and_b64 s[58:59], s[6:7], exec
; %bb.214:                              ;   in Loop: Header=BB13_160 Depth=2
	s_or_b64 exec, exec, s[62:63]
	s_and_b64 s[60:61], s[60:61], exec
	s_and_b64 s[58:59], s[58:59], exec
.LBB13_215:                             ;   in Loop: Header=BB13_160 Depth=2
	s_or_b64 exec, exec, s[54:55]
	s_and_b64 s[54:55], s[60:61], exec
	s_and_b64 s[58:59], s[58:59], exec
	s_andn2_saveexec_b64 s[56:57], s[56:57]
	s_cbranch_execnz .LBB13_219
.LBB13_216:                             ;   in Loop: Header=BB13_160 Depth=2
	s_or_b64 exec, exec, s[56:57]
	s_and_saveexec_b64 s[56:57], s[58:59]
	s_cbranch_execz .LBB13_222
.LBB13_217:                             ;   in Loop: Header=BB13_160 Depth=2
	v_lshlrev_b64 v[2:3], 2, v[10:11]
	v_mov_b32_e32 v1, s69
	v_add_co_u32_e32 v2, vcc, s68, v2
	v_addc_co_u32_e32 v3, vcc, v1, v3, vcc
	global_load_dword v2, v[2:3], off
	s_or_b64 s[54:55], s[54:55], exec
	s_or_b64 exec, exec, s[56:57]
	s_and_saveexec_b64 s[56:57], s[54:55]
	s_cbranch_execnz .LBB13_223
	s_branch .LBB13_224
.LBB13_218:                             ;   in Loop: Header=BB13_160 Depth=2
	s_andn2_saveexec_b64 s[56:57], s[56:57]
	s_cbranch_execz .LBB13_216
.LBB13_219:                             ;   in Loop: Header=BB13_160 Depth=2
	s_mov_b64 s[62:63], exec
	v_mbcnt_lo_u32_b32 v0, s62, 0
	v_mbcnt_hi_u32_b32 v0, s63, v0
	v_cmp_eq_u32_e32 vcc, 0, v0
                                        ; implicit-def: $vgpr1
	s_and_saveexec_b64 s[60:61], vcc
	s_cbranch_execz .LBB13_221
; %bb.220:                              ;   in Loop: Header=BB13_160 Depth=2
	s_bcnt1_i32_b64 s44, s[62:63]
	v_mov_b32_e32 v1, s44
	global_atomic_add v1, v31, v1, s[26:27] offset:384 glc
.LBB13_221:                             ;   in Loop: Header=BB13_160 Depth=2
	s_or_b64 exec, exec, s[60:61]
	s_andn2_b64 s[54:55], s[54:55], exec
	s_and_b64 s[60:61], s[46:47], exec
	s_waitcnt vmcnt(0)
	v_readfirstlane_b32 s44, v1
	s_or_b64 s[54:55], s[54:55], s[60:61]
	s_andn2_b64 s[58:59], s[58:59], exec
	s_and_b64 s[60:61], s[6:7], exec
	v_add_u32_e32 v0, s44, v0
	s_or_b64 s[58:59], s[58:59], s[60:61]
	s_or_b64 exec, exec, s[56:57]
	s_and_saveexec_b64 s[56:57], s[58:59]
	s_cbranch_execnz .LBB13_217
.LBB13_222:                             ;   in Loop: Header=BB13_160 Depth=2
	s_or_b64 exec, exec, s[56:57]
	s_and_saveexec_b64 s[56:57], s[54:55]
	s_cbranch_execz .LBB13_224
.LBB13_223:                             ;   in Loop: Header=BB13_160 Depth=2
	v_ashrrev_i32_e32 v1, 31, v0
	v_lshlrev_b64 v[0:1], 2, v[0:1]
	v_mov_b32_e32 v3, s39
	v_add_co_u32_e32 v0, vcc, s33, v0
	v_addc_co_u32_e32 v1, vcc, v3, v1, vcc
	s_waitcnt vmcnt(0)
	global_store_dword v[0:1], v2, off
.LBB13_224:                             ;   in Loop: Header=BB13_160 Depth=2
	s_or_b64 exec, exec, s[56:57]
	v_mov_b32_e32 v1, s37
	v_add_co_u32_e32 v0, vcc, s36, v8
	v_addc_co_u32_e32 v1, vcc, v9, v1, vcc
	s_waitcnt vmcnt(0)
	v_lshlrev_b64 v[2:3], 4, v[46:47]
	v_mov_b32_e32 v8, s70
	v_add_co_u32_e32 v2, vcc, s64, v2
	v_addc_co_u32_e32 v3, vcc, v8, v3, vcc
	global_load_dwordx4 v[8:11], v[0:1], off
	s_nop 0
	global_load_dwordx4 v[0:3], v[2:3], off
	v_add_co_u32_e32 v30, vcc, s28, v44
	v_cmp_gt_i32_e32 vcc, 0, v4
	v_cndmask_b32_e64 v39, v61, 0, vcc
	v_xor_b32_e32 v39, v39, v4
	v_lshl_add_u32 v48, v30, 2, s34
	v_cmp_ge_u32_e32 vcc, v39, v42
	s_mov_b64 s[58:59], 0
	s_mov_b64 s[54:55], 0
                                        ; implicit-def: $vgpr4
                                        ; implicit-def: $vgpr50
	s_and_saveexec_b64 s[56:57], vcc
	s_xor_b64 s[56:57], exec, s[56:57]
	s_cbranch_execz .LBB13_234
; %bb.225:                              ;   in Loop: Header=BB13_160 Depth=2
	v_cmp_eq_u32_e32 vcc, v39, v42
	s_mov_b64 s[60:61], 0
                                        ; implicit-def: $vgpr50
	s_and_saveexec_b64 s[54:55], vcc
	s_cbranch_execz .LBB13_231
; %bb.226:                              ;   in Loop: Header=BB13_160 Depth=2
	s_mov_b64 s[60:61], exec
	v_mbcnt_lo_u32_b32 v4, s60, 0
	v_mbcnt_hi_u32_b32 v4, s61, v4
	v_cmp_eq_u32_e32 vcc, 0, v4
                                        ; implicit-def: $vgpr39
	s_and_saveexec_b64 s[58:59], vcc
	s_cbranch_execz .LBB13_228
; %bb.227:                              ;   in Loop: Header=BB13_160 Depth=2
	s_bcnt1_i32_b64 s44, s[60:61]
	v_mov_b32_e32 v39, s44
	global_atomic_add v39, v31, v39, s[26:27] offset:512 glc
.LBB13_228:                             ;   in Loop: Header=BB13_160 Depth=2
	s_or_b64 exec, exec, s[58:59]
	s_waitcnt vmcnt(0)
	v_readfirstlane_b32 s44, v39
	v_add_u32_e32 v4, s44, v4
	v_cmp_lt_i32_e32 vcc, v4, v43
	s_mov_b64 s[58:59], 0
	s_mov_b64 s[60:61], 0
                                        ; implicit-def: $vgpr50
	s_and_saveexec_b64 s[62:63], vcc
	s_xor_b64 s[62:63], exec, s[62:63]
; %bb.229:                              ;   in Loop: Header=BB13_160 Depth=2
	v_xad_u32 v50, v4, -1, s38
	s_and_b64 s[60:61], s[46:47], exec
	s_and_b64 s[58:59], s[6:7], exec
; %bb.230:                              ;   in Loop: Header=BB13_160 Depth=2
	s_or_b64 exec, exec, s[62:63]
	s_and_b64 s[60:61], s[60:61], exec
	s_and_b64 s[58:59], s[58:59], exec
.LBB13_231:                             ;   in Loop: Header=BB13_160 Depth=2
	s_or_b64 exec, exec, s[54:55]
	s_and_b64 s[54:55], s[60:61], exec
	s_and_b64 s[58:59], s[58:59], exec
	v_mov_b32_e32 v4, v48
	s_andn2_saveexec_b64 s[56:57], s[56:57]
	s_cbranch_execnz .LBB13_235
.LBB13_232:                             ;   in Loop: Header=BB13_160 Depth=2
	s_or_b64 exec, exec, s[56:57]
	v_ashrrev_i32_e32 v49, 31, v48
	s_and_saveexec_b64 s[56:57], s[58:59]
	s_cbranch_execz .LBB13_238
.LBB13_233:                             ;   in Loop: Header=BB13_160 Depth=2
	v_lshlrev_b64 v[64:65], 2, v[48:49]
	v_mov_b32_e32 v4, s25
	v_add_co_u32_e32 v64, vcc, s24, v64
	v_addc_co_u32_e32 v65, vcc, v4, v65, vcc
	global_load_dword v4, v[64:65], off
	s_or_b64 s[54:55], s[54:55], exec
	s_or_b64 exec, exec, s[56:57]
	s_and_saveexec_b64 s[56:57], s[54:55]
	s_cbranch_execnz .LBB13_239
	s_branch .LBB13_240
.LBB13_234:                             ;   in Loop: Header=BB13_160 Depth=2
	s_andn2_saveexec_b64 s[56:57], s[56:57]
	s_cbranch_execz .LBB13_232
.LBB13_235:                             ;   in Loop: Header=BB13_160 Depth=2
	s_mov_b64 s[62:63], exec
	v_mbcnt_lo_u32_b32 v4, s62, 0
	v_mbcnt_hi_u32_b32 v4, s63, v4
	v_cmp_eq_u32_e32 vcc, 0, v4
                                        ; implicit-def: $vgpr39
	s_and_saveexec_b64 s[60:61], vcc
	s_cbranch_execz .LBB13_237
; %bb.236:                              ;   in Loop: Header=BB13_160 Depth=2
	s_bcnt1_i32_b64 s44, s[62:63]
	v_mov_b32_e32 v39, s44
	global_atomic_add v39, v31, v39, s[26:27] offset:384 glc
.LBB13_237:                             ;   in Loop: Header=BB13_160 Depth=2
	s_or_b64 exec, exec, s[60:61]
	s_andn2_b64 s[54:55], s[54:55], exec
	s_and_b64 s[60:61], s[46:47], exec
	s_waitcnt vmcnt(0)
	v_readfirstlane_b32 s44, v39
	s_or_b64 s[54:55], s[54:55], s[60:61]
	s_andn2_b64 s[58:59], s[58:59], exec
	s_and_b64 s[60:61], s[6:7], exec
	v_add_u32_e32 v50, s44, v4
	s_or_b64 s[58:59], s[58:59], s[60:61]
	v_mov_b32_e32 v4, v48
	s_or_b64 exec, exec, s[56:57]
	v_ashrrev_i32_e32 v49, 31, v48
	s_and_saveexec_b64 s[56:57], s[58:59]
	s_cbranch_execnz .LBB13_233
.LBB13_238:                             ;   in Loop: Header=BB13_160 Depth=2
	s_or_b64 exec, exec, s[56:57]
	s_and_saveexec_b64 s[56:57], s[54:55]
	s_cbranch_execz .LBB13_240
.LBB13_239:                             ;   in Loop: Header=BB13_160 Depth=2
	v_ashrrev_i32_e32 v51, 31, v50
	v_lshlrev_b64 v[50:51], 2, v[50:51]
	v_mov_b32_e32 v39, s39
	v_add_co_u32_e32 v50, vcc, s33, v50
	v_addc_co_u32_e32 v51, vcc, v39, v51, vcc
	s_waitcnt vmcnt(0)
	global_store_dword v[50:51], v4, off
.LBB13_240:                             ;   in Loop: Header=BB13_160 Depth=2
	s_or_b64 exec, exec, s[56:57]
	v_cmp_gt_i32_e32 vcc, 0, v5
	s_waitcnt vmcnt(0)
	v_cndmask_b32_e64 v4, v61, 0, vcc
	v_xor_b32_e32 v5, v4, v5
	v_add_u32_e32 v39, 1, v48
	v_cmp_ge_u32_e32 vcc, v5, v42
	s_mov_b64 s[58:59], 0
	s_mov_b64 s[54:55], 0
                                        ; implicit-def: $vgpr4
	s_and_saveexec_b64 s[56:57], vcc
	s_xor_b64 s[56:57], exec, s[56:57]
	s_cbranch_execz .LBB13_250
; %bb.241:                              ;   in Loop: Header=BB13_160 Depth=2
	v_cmp_eq_u32_e32 vcc, v5, v42
	s_mov_b64 s[60:61], 0
                                        ; implicit-def: $vgpr4
	s_and_saveexec_b64 s[54:55], vcc
	s_cbranch_execz .LBB13_247
; %bb.242:                              ;   in Loop: Header=BB13_160 Depth=2
	s_mov_b64 s[60:61], exec
	v_mbcnt_lo_u32_b32 v4, s60, 0
	v_mbcnt_hi_u32_b32 v4, s61, v4
	v_cmp_eq_u32_e32 vcc, 0, v4
                                        ; implicit-def: $vgpr5
	s_and_saveexec_b64 s[58:59], vcc
	s_cbranch_execz .LBB13_244
; %bb.243:                              ;   in Loop: Header=BB13_160 Depth=2
	s_bcnt1_i32_b64 s44, s[60:61]
	v_mov_b32_e32 v5, s44
	global_atomic_add v5, v31, v5, s[26:27] offset:512 glc
.LBB13_244:                             ;   in Loop: Header=BB13_160 Depth=2
	s_or_b64 exec, exec, s[58:59]
	s_waitcnt vmcnt(0)
	v_readfirstlane_b32 s44, v5
	v_add_u32_e32 v5, s44, v4
	v_cmp_lt_i32_e32 vcc, v5, v43
	s_mov_b64 s[58:59], 0
	s_mov_b64 s[60:61], 0
                                        ; implicit-def: $vgpr4
	s_and_saveexec_b64 s[62:63], vcc
; %bb.245:                              ;   in Loop: Header=BB13_160 Depth=2
	v_xad_u32 v4, v5, -1, s38
	s_and_b64 s[60:61], s[46:47], exec
	s_and_b64 s[58:59], s[6:7], exec
; %bb.246:                              ;   in Loop: Header=BB13_160 Depth=2
	s_or_b64 exec, exec, s[62:63]
	s_and_b64 s[60:61], s[60:61], exec
	s_and_b64 s[58:59], s[58:59], exec
.LBB13_247:                             ;   in Loop: Header=BB13_160 Depth=2
	s_or_b64 exec, exec, s[54:55]
	s_and_b64 s[54:55], s[60:61], exec
	s_and_b64 s[58:59], s[58:59], exec
	s_andn2_saveexec_b64 s[56:57], s[56:57]
	s_cbranch_execnz .LBB13_251
.LBB13_248:                             ;   in Loop: Header=BB13_160 Depth=2
	s_or_b64 exec, exec, s[56:57]
	s_and_saveexec_b64 s[56:57], s[58:59]
	s_cbranch_execz .LBB13_254
.LBB13_249:                             ;   in Loop: Header=BB13_160 Depth=2
	v_lshlrev_b64 v[50:51], 2, v[48:49]
	v_mov_b32_e32 v5, s35
	v_add_co_u32_e32 v50, vcc, s29, v50
	v_addc_co_u32_e32 v51, vcc, v5, v51, vcc
	global_load_dword v39, v[50:51], off
	s_or_b64 s[54:55], s[54:55], exec
	s_or_b64 exec, exec, s[56:57]
	s_and_saveexec_b64 s[56:57], s[54:55]
	s_cbranch_execnz .LBB13_255
	s_branch .LBB13_256
.LBB13_250:                             ;   in Loop: Header=BB13_160 Depth=2
	s_andn2_saveexec_b64 s[56:57], s[56:57]
	s_cbranch_execz .LBB13_248
.LBB13_251:                             ;   in Loop: Header=BB13_160 Depth=2
	s_mov_b64 s[62:63], exec
	v_mbcnt_lo_u32_b32 v4, s62, 0
	v_mbcnt_hi_u32_b32 v4, s63, v4
	v_cmp_eq_u32_e32 vcc, 0, v4
                                        ; implicit-def: $vgpr5
	s_and_saveexec_b64 s[60:61], vcc
	s_cbranch_execz .LBB13_253
; %bb.252:                              ;   in Loop: Header=BB13_160 Depth=2
	s_bcnt1_i32_b64 s44, s[62:63]
	v_mov_b32_e32 v5, s44
	global_atomic_add v5, v31, v5, s[26:27] offset:384 glc
.LBB13_253:                             ;   in Loop: Header=BB13_160 Depth=2
	s_or_b64 exec, exec, s[60:61]
	s_andn2_b64 s[54:55], s[54:55], exec
	s_and_b64 s[60:61], s[46:47], exec
	s_waitcnt vmcnt(0)
	v_readfirstlane_b32 s44, v5
	s_or_b64 s[54:55], s[54:55], s[60:61]
	s_andn2_b64 s[58:59], s[58:59], exec
	s_and_b64 s[60:61], s[6:7], exec
	v_add_u32_e32 v4, s44, v4
	s_or_b64 s[58:59], s[58:59], s[60:61]
	s_or_b64 exec, exec, s[56:57]
	s_and_saveexec_b64 s[56:57], s[58:59]
	s_cbranch_execnz .LBB13_249
.LBB13_254:                             ;   in Loop: Header=BB13_160 Depth=2
	s_or_b64 exec, exec, s[56:57]
	s_and_saveexec_b64 s[56:57], s[54:55]
	s_cbranch_execz .LBB13_256
.LBB13_255:                             ;   in Loop: Header=BB13_160 Depth=2
	v_ashrrev_i32_e32 v5, 31, v4
	v_lshlrev_b64 v[4:5], 2, v[4:5]
	v_mov_b32_e32 v45, s39
	v_add_co_u32_e32 v4, vcc, s33, v4
	v_addc_co_u32_e32 v5, vcc, v45, v5, vcc
	s_waitcnt vmcnt(0)
	global_store_dword v[4:5], v39, off
.LBB13_256:                             ;   in Loop: Header=BB13_160 Depth=2
	s_or_b64 exec, exec, s[56:57]
	v_cmp_gt_i32_e32 vcc, 0, v6
	v_cndmask_b32_e64 v4, v61, 0, vcc
	v_xor_b32_e32 v5, v4, v6
	s_waitcnt vmcnt(0)
	v_add_u32_e32 v39, 2, v48
	v_cmp_ge_u32_e32 vcc, v5, v42
	s_mov_b64 s[58:59], 0
	s_mov_b64 s[54:55], 0
                                        ; implicit-def: $vgpr4
	s_and_saveexec_b64 s[56:57], vcc
	s_xor_b64 s[56:57], exec, s[56:57]
	s_cbranch_execz .LBB13_266
; %bb.257:                              ;   in Loop: Header=BB13_160 Depth=2
	v_cmp_eq_u32_e32 vcc, v5, v42
	s_mov_b64 s[60:61], 0
                                        ; implicit-def: $vgpr4
	s_and_saveexec_b64 s[54:55], vcc
	s_cbranch_execz .LBB13_263
; %bb.258:                              ;   in Loop: Header=BB13_160 Depth=2
	s_mov_b64 s[60:61], exec
	v_mbcnt_lo_u32_b32 v4, s60, 0
	v_mbcnt_hi_u32_b32 v4, s61, v4
	v_cmp_eq_u32_e32 vcc, 0, v4
                                        ; implicit-def: $vgpr5
	s_and_saveexec_b64 s[58:59], vcc
	s_cbranch_execz .LBB13_260
; %bb.259:                              ;   in Loop: Header=BB13_160 Depth=2
	s_bcnt1_i32_b64 s44, s[60:61]
	v_mov_b32_e32 v5, s44
	global_atomic_add v5, v31, v5, s[26:27] offset:512 glc
.LBB13_260:                             ;   in Loop: Header=BB13_160 Depth=2
	s_or_b64 exec, exec, s[58:59]
	s_waitcnt vmcnt(0)
	v_readfirstlane_b32 s44, v5
	v_add_u32_e32 v5, s44, v4
	v_cmp_lt_i32_e32 vcc, v5, v43
	s_mov_b64 s[58:59], 0
	s_mov_b64 s[60:61], 0
                                        ; implicit-def: $vgpr4
	s_and_saveexec_b64 s[62:63], vcc
; %bb.261:                              ;   in Loop: Header=BB13_160 Depth=2
	v_xad_u32 v4, v5, -1, s38
	s_and_b64 s[60:61], s[46:47], exec
	s_and_b64 s[58:59], s[6:7], exec
; %bb.262:                              ;   in Loop: Header=BB13_160 Depth=2
	s_or_b64 exec, exec, s[62:63]
	s_and_b64 s[60:61], s[60:61], exec
	s_and_b64 s[58:59], s[58:59], exec
.LBB13_263:                             ;   in Loop: Header=BB13_160 Depth=2
	s_or_b64 exec, exec, s[54:55]
	s_and_b64 s[54:55], s[60:61], exec
	s_and_b64 s[58:59], s[58:59], exec
	s_andn2_saveexec_b64 s[56:57], s[56:57]
	s_cbranch_execnz .LBB13_267
.LBB13_264:                             ;   in Loop: Header=BB13_160 Depth=2
	s_or_b64 exec, exec, s[56:57]
	s_and_saveexec_b64 s[56:57], s[58:59]
	s_cbranch_execz .LBB13_270
.LBB13_265:                             ;   in Loop: Header=BB13_160 Depth=2
	v_lshlrev_b64 v[50:51], 2, v[48:49]
	v_mov_b32_e32 v5, s67
	v_add_co_u32_e32 v50, vcc, s66, v50
	v_addc_co_u32_e32 v51, vcc, v5, v51, vcc
	global_load_dword v39, v[50:51], off
	s_or_b64 s[54:55], s[54:55], exec
	s_or_b64 exec, exec, s[56:57]
	s_and_saveexec_b64 s[56:57], s[54:55]
	s_cbranch_execnz .LBB13_271
	s_branch .LBB13_272
.LBB13_266:                             ;   in Loop: Header=BB13_160 Depth=2
	s_andn2_saveexec_b64 s[56:57], s[56:57]
	s_cbranch_execz .LBB13_264
.LBB13_267:                             ;   in Loop: Header=BB13_160 Depth=2
	s_mov_b64 s[62:63], exec
	v_mbcnt_lo_u32_b32 v4, s62, 0
	v_mbcnt_hi_u32_b32 v4, s63, v4
	v_cmp_eq_u32_e32 vcc, 0, v4
                                        ; implicit-def: $vgpr5
	s_and_saveexec_b64 s[60:61], vcc
	s_cbranch_execz .LBB13_269
; %bb.268:                              ;   in Loop: Header=BB13_160 Depth=2
	s_bcnt1_i32_b64 s44, s[62:63]
	v_mov_b32_e32 v5, s44
	global_atomic_add v5, v31, v5, s[26:27] offset:384 glc
.LBB13_269:                             ;   in Loop: Header=BB13_160 Depth=2
	s_or_b64 exec, exec, s[60:61]
	s_andn2_b64 s[54:55], s[54:55], exec
	s_and_b64 s[60:61], s[46:47], exec
	s_waitcnt vmcnt(0)
	v_readfirstlane_b32 s44, v5
	s_or_b64 s[54:55], s[54:55], s[60:61]
	s_andn2_b64 s[58:59], s[58:59], exec
	s_and_b64 s[60:61], s[6:7], exec
	v_add_u32_e32 v4, s44, v4
	s_or_b64 s[58:59], s[58:59], s[60:61]
	s_or_b64 exec, exec, s[56:57]
	s_and_saveexec_b64 s[56:57], s[58:59]
	s_cbranch_execnz .LBB13_265
.LBB13_270:                             ;   in Loop: Header=BB13_160 Depth=2
	s_or_b64 exec, exec, s[56:57]
	s_and_saveexec_b64 s[56:57], s[54:55]
	s_cbranch_execz .LBB13_272
.LBB13_271:                             ;   in Loop: Header=BB13_160 Depth=2
	v_ashrrev_i32_e32 v5, 31, v4
	v_lshlrev_b64 v[4:5], 2, v[4:5]
	v_mov_b32_e32 v6, s39
	v_add_co_u32_e32 v4, vcc, s33, v4
	v_addc_co_u32_e32 v5, vcc, v6, v5, vcc
	s_waitcnt vmcnt(0)
	global_store_dword v[4:5], v39, off
.LBB13_272:                             ;   in Loop: Header=BB13_160 Depth=2
	s_or_b64 exec, exec, s[56:57]
	v_cmp_gt_i32_e32 vcc, 0, v7
	v_cndmask_b32_e64 v4, v61, 0, vcc
	v_xor_b32_e32 v5, v4, v7
	v_add_u32_e32 v6, 3, v48
	v_cmp_ge_u32_e32 vcc, v5, v42
	s_mov_b64 s[58:59], 0
	s_mov_b64 s[54:55], 0
                                        ; implicit-def: $vgpr4
	s_and_saveexec_b64 s[56:57], vcc
	s_xor_b64 s[56:57], exec, s[56:57]
	s_cbranch_execz .LBB13_282
; %bb.273:                              ;   in Loop: Header=BB13_160 Depth=2
	v_cmp_eq_u32_e32 vcc, v5, v42
	s_mov_b64 s[60:61], 0
                                        ; implicit-def: $vgpr4
	s_and_saveexec_b64 s[54:55], vcc
	s_cbranch_execz .LBB13_279
; %bb.274:                              ;   in Loop: Header=BB13_160 Depth=2
	s_mov_b64 s[60:61], exec
	v_mbcnt_lo_u32_b32 v4, s60, 0
	v_mbcnt_hi_u32_b32 v4, s61, v4
	v_cmp_eq_u32_e32 vcc, 0, v4
                                        ; implicit-def: $vgpr5
	s_and_saveexec_b64 s[58:59], vcc
	s_cbranch_execz .LBB13_276
; %bb.275:                              ;   in Loop: Header=BB13_160 Depth=2
	s_bcnt1_i32_b64 s44, s[60:61]
	v_mov_b32_e32 v5, s44
	global_atomic_add v5, v31, v5, s[26:27] offset:512 glc
.LBB13_276:                             ;   in Loop: Header=BB13_160 Depth=2
	s_or_b64 exec, exec, s[58:59]
	s_waitcnt vmcnt(0)
	v_readfirstlane_b32 s44, v5
	v_add_u32_e32 v5, s44, v4
	v_cmp_lt_i32_e32 vcc, v5, v43
	s_mov_b64 s[58:59], 0
	s_mov_b64 s[60:61], 0
                                        ; implicit-def: $vgpr4
	s_and_saveexec_b64 s[62:63], vcc
; %bb.277:                              ;   in Loop: Header=BB13_160 Depth=2
	v_xad_u32 v4, v5, -1, s38
	s_and_b64 s[60:61], s[46:47], exec
	s_and_b64 s[58:59], s[6:7], exec
; %bb.278:                              ;   in Loop: Header=BB13_160 Depth=2
	s_or_b64 exec, exec, s[62:63]
	s_and_b64 s[60:61], s[60:61], exec
	s_and_b64 s[58:59], s[58:59], exec
.LBB13_279:                             ;   in Loop: Header=BB13_160 Depth=2
	s_or_b64 exec, exec, s[54:55]
	s_and_b64 s[54:55], s[60:61], exec
	s_and_b64 s[58:59], s[58:59], exec
	s_andn2_saveexec_b64 s[56:57], s[56:57]
	s_cbranch_execnz .LBB13_283
.LBB13_280:                             ;   in Loop: Header=BB13_160 Depth=2
	s_or_b64 exec, exec, s[56:57]
	s_and_saveexec_b64 s[56:57], s[58:59]
	s_cbranch_execz .LBB13_286
.LBB13_281:                             ;   in Loop: Header=BB13_160 Depth=2
	v_lshlrev_b64 v[6:7], 2, v[48:49]
	v_mov_b32_e32 v5, s69
	v_add_co_u32_e32 v6, vcc, s68, v6
	v_addc_co_u32_e32 v7, vcc, v5, v7, vcc
	global_load_dword v6, v[6:7], off
	s_or_b64 s[54:55], s[54:55], exec
	s_or_b64 exec, exec, s[56:57]
	s_and_saveexec_b64 s[56:57], s[54:55]
	s_cbranch_execnz .LBB13_287
	s_branch .LBB13_288
.LBB13_282:                             ;   in Loop: Header=BB13_160 Depth=2
	s_andn2_saveexec_b64 s[56:57], s[56:57]
	s_cbranch_execz .LBB13_280
.LBB13_283:                             ;   in Loop: Header=BB13_160 Depth=2
	s_mov_b64 s[62:63], exec
	v_mbcnt_lo_u32_b32 v4, s62, 0
	v_mbcnt_hi_u32_b32 v4, s63, v4
	v_cmp_eq_u32_e32 vcc, 0, v4
                                        ; implicit-def: $vgpr5
	s_and_saveexec_b64 s[60:61], vcc
	s_cbranch_execz .LBB13_285
; %bb.284:                              ;   in Loop: Header=BB13_160 Depth=2
	s_bcnt1_i32_b64 s44, s[62:63]
	v_mov_b32_e32 v5, s44
	global_atomic_add v5, v31, v5, s[26:27] offset:384 glc
.LBB13_285:                             ;   in Loop: Header=BB13_160 Depth=2
	s_or_b64 exec, exec, s[60:61]
	s_andn2_b64 s[54:55], s[54:55], exec
	s_and_b64 s[60:61], s[46:47], exec
	s_waitcnt vmcnt(0)
	v_readfirstlane_b32 s44, v5
	s_or_b64 s[54:55], s[54:55], s[60:61]
	s_andn2_b64 s[58:59], s[58:59], exec
	s_and_b64 s[60:61], s[6:7], exec
	v_add_u32_e32 v4, s44, v4
	s_or_b64 s[58:59], s[58:59], s[60:61]
	s_or_b64 exec, exec, s[56:57]
	s_and_saveexec_b64 s[56:57], s[58:59]
	s_cbranch_execnz .LBB13_281
.LBB13_286:                             ;   in Loop: Header=BB13_160 Depth=2
	s_or_b64 exec, exec, s[56:57]
	s_and_saveexec_b64 s[56:57], s[54:55]
	s_cbranch_execz .LBB13_288
.LBB13_287:                             ;   in Loop: Header=BB13_160 Depth=2
	v_ashrrev_i32_e32 v5, 31, v4
	v_lshlrev_b64 v[4:5], 2, v[4:5]
	v_mov_b32_e32 v7, s39
	v_add_co_u32_e32 v4, vcc, s33, v4
	v_addc_co_u32_e32 v5, vcc, v7, v5, vcc
	s_waitcnt vmcnt(0)
	global_store_dword v[4:5], v6, off
.LBB13_288:                             ;   in Loop: Header=BB13_160 Depth=2
	s_or_b64 exec, exec, s[56:57]
	v_cmp_gt_i32_e32 vcc, 0, v8
	v_cndmask_b32_e64 v5, v61, 0, vcc
	v_add_u32_e32 v4, s28, v30
	v_xor_b32_e32 v5, v5, v8
	v_lshl_add_u32 v4, v4, 2, s34
	v_cmp_ge_u32_e32 vcc, v5, v42
	s_mov_b64 s[58:59], 0
	s_mov_b64 s[54:55], 0
                                        ; implicit-def: $vgpr8
                                        ; implicit-def: $vgpr6
	s_and_saveexec_b64 s[56:57], vcc
	s_xor_b64 s[56:57], exec, s[56:57]
	s_cbranch_execz .LBB13_298
; %bb.289:                              ;   in Loop: Header=BB13_160 Depth=2
	v_cmp_eq_u32_e32 vcc, v5, v42
	s_mov_b64 s[60:61], 0
                                        ; implicit-def: $vgpr6
	s_and_saveexec_b64 s[54:55], vcc
	s_cbranch_execz .LBB13_295
; %bb.290:                              ;   in Loop: Header=BB13_160 Depth=2
	s_mov_b64 s[60:61], exec
	v_mbcnt_lo_u32_b32 v5, s60, 0
	v_mbcnt_hi_u32_b32 v5, s61, v5
	v_cmp_eq_u32_e32 vcc, 0, v5
                                        ; implicit-def: $vgpr6
	s_and_saveexec_b64 s[58:59], vcc
	s_cbranch_execz .LBB13_292
; %bb.291:                              ;   in Loop: Header=BB13_160 Depth=2
	s_bcnt1_i32_b64 s44, s[60:61]
	s_waitcnt vmcnt(0)
	v_mov_b32_e32 v6, s44
	global_atomic_add v6, v31, v6, s[26:27] offset:512 glc
.LBB13_292:                             ;   in Loop: Header=BB13_160 Depth=2
	s_or_b64 exec, exec, s[58:59]
	s_waitcnt vmcnt(0)
	v_readfirstlane_b32 s44, v6
	v_add_u32_e32 v5, s44, v5
	v_cmp_lt_i32_e32 vcc, v5, v43
	s_mov_b64 s[58:59], 0
	s_mov_b64 s[60:61], 0
                                        ; implicit-def: $vgpr6
	s_and_saveexec_b64 s[62:63], vcc
	s_xor_b64 s[62:63], exec, s[62:63]
; %bb.293:                              ;   in Loop: Header=BB13_160 Depth=2
	v_xad_u32 v6, v5, -1, s38
	s_and_b64 s[60:61], s[46:47], exec
	s_and_b64 s[58:59], s[6:7], exec
; %bb.294:                              ;   in Loop: Header=BB13_160 Depth=2
	s_or_b64 exec, exec, s[62:63]
	s_and_b64 s[60:61], s[60:61], exec
	s_and_b64 s[58:59], s[58:59], exec
.LBB13_295:                             ;   in Loop: Header=BB13_160 Depth=2
	s_or_b64 exec, exec, s[54:55]
	s_and_b64 s[54:55], s[60:61], exec
	s_and_b64 s[58:59], s[58:59], exec
	v_mov_b32_e32 v8, v4
	s_andn2_saveexec_b64 s[56:57], s[56:57]
	s_cbranch_execnz .LBB13_299
.LBB13_296:                             ;   in Loop: Header=BB13_160 Depth=2
	s_or_b64 exec, exec, s[56:57]
	v_ashrrev_i32_e32 v5, 31, v4
	s_and_saveexec_b64 s[56:57], s[58:59]
	s_cbranch_execz .LBB13_302
.LBB13_297:                             ;   in Loop: Header=BB13_160 Depth=2
	v_lshlrev_b64 v[48:49], 2, v[4:5]
	v_mov_b32_e32 v7, s25
	v_add_co_u32_e32 v48, vcc, s24, v48
	v_addc_co_u32_e32 v49, vcc, v7, v49, vcc
	global_load_dword v8, v[48:49], off
	s_or_b64 s[54:55], s[54:55], exec
	s_or_b64 exec, exec, s[56:57]
	s_and_saveexec_b64 s[56:57], s[54:55]
	s_cbranch_execnz .LBB13_303
	s_branch .LBB13_304
.LBB13_298:                             ;   in Loop: Header=BB13_160 Depth=2
	s_andn2_saveexec_b64 s[56:57], s[56:57]
	s_cbranch_execz .LBB13_296
.LBB13_299:                             ;   in Loop: Header=BB13_160 Depth=2
	s_mov_b64 s[62:63], exec
	v_mbcnt_lo_u32_b32 v5, s62, 0
	v_mbcnt_hi_u32_b32 v5, s63, v5
	v_cmp_eq_u32_e32 vcc, 0, v5
                                        ; implicit-def: $vgpr6
	s_and_saveexec_b64 s[60:61], vcc
	s_cbranch_execz .LBB13_301
; %bb.300:                              ;   in Loop: Header=BB13_160 Depth=2
	s_bcnt1_i32_b64 s44, s[62:63]
	s_waitcnt vmcnt(0)
	v_mov_b32_e32 v6, s44
	global_atomic_add v6, v31, v6, s[26:27] offset:384 glc
.LBB13_301:                             ;   in Loop: Header=BB13_160 Depth=2
	s_or_b64 exec, exec, s[60:61]
	s_andn2_b64 s[54:55], s[54:55], exec
	s_and_b64 s[60:61], s[46:47], exec
	s_waitcnt vmcnt(0)
	v_readfirstlane_b32 s44, v6
	s_or_b64 s[54:55], s[54:55], s[60:61]
	s_andn2_b64 s[58:59], s[58:59], exec
	s_and_b64 s[60:61], s[6:7], exec
	v_add_u32_e32 v6, s44, v5
	s_or_b64 s[58:59], s[58:59], s[60:61]
	v_mov_b32_e32 v8, v4
	s_or_b64 exec, exec, s[56:57]
	v_ashrrev_i32_e32 v5, 31, v4
	s_and_saveexec_b64 s[56:57], s[58:59]
	s_cbranch_execnz .LBB13_297
.LBB13_302:                             ;   in Loop: Header=BB13_160 Depth=2
	s_or_b64 exec, exec, s[56:57]
	s_and_saveexec_b64 s[56:57], s[54:55]
	s_cbranch_execz .LBB13_304
.LBB13_303:                             ;   in Loop: Header=BB13_160 Depth=2
	s_waitcnt vmcnt(0)
	v_ashrrev_i32_e32 v7, 31, v6
	v_lshlrev_b64 v[6:7], 2, v[6:7]
	v_mov_b32_e32 v30, s39
	v_add_co_u32_e32 v6, vcc, s33, v6
	v_addc_co_u32_e32 v7, vcc, v30, v7, vcc
	global_store_dword v[6:7], v8, off
.LBB13_304:                             ;   in Loop: Header=BB13_160 Depth=2
	s_or_b64 exec, exec, s[56:57]
	v_cmp_gt_i32_e32 vcc, 0, v9
	s_waitcnt vmcnt(0)
	v_cndmask_b32_e64 v6, v61, 0, vcc
	v_xor_b32_e32 v7, v6, v9
	v_add_u32_e32 v8, 1, v4
	v_cmp_ge_u32_e32 vcc, v7, v42
	s_mov_b64 s[58:59], 0
	s_mov_b64 s[54:55], 0
                                        ; implicit-def: $vgpr6
	s_and_saveexec_b64 s[56:57], vcc
	s_xor_b64 s[56:57], exec, s[56:57]
	s_cbranch_execz .LBB13_314
; %bb.305:                              ;   in Loop: Header=BB13_160 Depth=2
	v_cmp_eq_u32_e32 vcc, v7, v42
	s_mov_b64 s[60:61], 0
                                        ; implicit-def: $vgpr6
	s_and_saveexec_b64 s[54:55], vcc
	s_cbranch_execz .LBB13_311
; %bb.306:                              ;   in Loop: Header=BB13_160 Depth=2
	s_mov_b64 s[60:61], exec
	v_mbcnt_lo_u32_b32 v6, s60, 0
	v_mbcnt_hi_u32_b32 v6, s61, v6
	v_cmp_eq_u32_e32 vcc, 0, v6
                                        ; implicit-def: $vgpr7
	s_and_saveexec_b64 s[58:59], vcc
	s_cbranch_execz .LBB13_308
; %bb.307:                              ;   in Loop: Header=BB13_160 Depth=2
	s_bcnt1_i32_b64 s44, s[60:61]
	v_mov_b32_e32 v7, s44
	global_atomic_add v7, v31, v7, s[26:27] offset:512 glc
.LBB13_308:                             ;   in Loop: Header=BB13_160 Depth=2
	s_or_b64 exec, exec, s[58:59]
	s_waitcnt vmcnt(0)
	v_readfirstlane_b32 s44, v7
	v_add_u32_e32 v7, s44, v6
	v_cmp_lt_i32_e32 vcc, v7, v43
	s_mov_b64 s[58:59], 0
	s_mov_b64 s[60:61], 0
                                        ; implicit-def: $vgpr6
	s_and_saveexec_b64 s[62:63], vcc
; %bb.309:                              ;   in Loop: Header=BB13_160 Depth=2
	v_xad_u32 v6, v7, -1, s38
	s_and_b64 s[60:61], s[46:47], exec
	s_and_b64 s[58:59], s[6:7], exec
; %bb.310:                              ;   in Loop: Header=BB13_160 Depth=2
	s_or_b64 exec, exec, s[62:63]
	s_and_b64 s[60:61], s[60:61], exec
	s_and_b64 s[58:59], s[58:59], exec
.LBB13_311:                             ;   in Loop: Header=BB13_160 Depth=2
	s_or_b64 exec, exec, s[54:55]
	s_and_b64 s[54:55], s[60:61], exec
	s_and_b64 s[58:59], s[58:59], exec
	s_andn2_saveexec_b64 s[56:57], s[56:57]
	s_cbranch_execnz .LBB13_315
.LBB13_312:                             ;   in Loop: Header=BB13_160 Depth=2
	s_or_b64 exec, exec, s[56:57]
	s_and_saveexec_b64 s[56:57], s[58:59]
	s_cbranch_execz .LBB13_318
.LBB13_313:                             ;   in Loop: Header=BB13_160 Depth=2
	v_lshlrev_b64 v[8:9], 2, v[4:5]
	v_mov_b32_e32 v7, s35
	v_add_co_u32_e32 v8, vcc, s29, v8
	v_addc_co_u32_e32 v9, vcc, v7, v9, vcc
	global_load_dword v8, v[8:9], off
	s_or_b64 s[54:55], s[54:55], exec
	s_or_b64 exec, exec, s[56:57]
	s_and_saveexec_b64 s[56:57], s[54:55]
	s_cbranch_execnz .LBB13_319
	s_branch .LBB13_320
.LBB13_314:                             ;   in Loop: Header=BB13_160 Depth=2
	s_andn2_saveexec_b64 s[56:57], s[56:57]
	s_cbranch_execz .LBB13_312
.LBB13_315:                             ;   in Loop: Header=BB13_160 Depth=2
	s_mov_b64 s[62:63], exec
	v_mbcnt_lo_u32_b32 v6, s62, 0
	v_mbcnt_hi_u32_b32 v6, s63, v6
	v_cmp_eq_u32_e32 vcc, 0, v6
                                        ; implicit-def: $vgpr7
	s_and_saveexec_b64 s[60:61], vcc
	s_cbranch_execz .LBB13_317
; %bb.316:                              ;   in Loop: Header=BB13_160 Depth=2
	s_bcnt1_i32_b64 s44, s[62:63]
	v_mov_b32_e32 v7, s44
	global_atomic_add v7, v31, v7, s[26:27] offset:384 glc
.LBB13_317:                             ;   in Loop: Header=BB13_160 Depth=2
	s_or_b64 exec, exec, s[60:61]
	s_andn2_b64 s[54:55], s[54:55], exec
	s_and_b64 s[60:61], s[46:47], exec
	s_waitcnt vmcnt(0)
	v_readfirstlane_b32 s44, v7
	s_or_b64 s[54:55], s[54:55], s[60:61]
	s_andn2_b64 s[58:59], s[58:59], exec
	s_and_b64 s[60:61], s[6:7], exec
	v_add_u32_e32 v6, s44, v6
	s_or_b64 s[58:59], s[58:59], s[60:61]
	s_or_b64 exec, exec, s[56:57]
	s_and_saveexec_b64 s[56:57], s[58:59]
	s_cbranch_execnz .LBB13_313
.LBB13_318:                             ;   in Loop: Header=BB13_160 Depth=2
	s_or_b64 exec, exec, s[56:57]
	s_and_saveexec_b64 s[56:57], s[54:55]
	s_cbranch_execz .LBB13_320
.LBB13_319:                             ;   in Loop: Header=BB13_160 Depth=2
	v_ashrrev_i32_e32 v7, 31, v6
	v_lshlrev_b64 v[6:7], 2, v[6:7]
	v_mov_b32_e32 v9, s39
	v_add_co_u32_e32 v6, vcc, s33, v6
	v_addc_co_u32_e32 v7, vcc, v9, v7, vcc
	s_waitcnt vmcnt(0)
	global_store_dword v[6:7], v8, off
.LBB13_320:                             ;   in Loop: Header=BB13_160 Depth=2
	s_or_b64 exec, exec, s[56:57]
	v_cmp_gt_i32_e32 vcc, 0, v10
	v_cndmask_b32_e64 v6, v61, 0, vcc
	v_xor_b32_e32 v7, v6, v10
	s_waitcnt vmcnt(0)
	v_add_u32_e32 v8, 2, v4
	v_cmp_ge_u32_e32 vcc, v7, v42
	s_mov_b64 s[58:59], 0
	s_mov_b64 s[54:55], 0
                                        ; implicit-def: $vgpr6
	s_and_saveexec_b64 s[56:57], vcc
	s_xor_b64 s[56:57], exec, s[56:57]
	s_cbranch_execz .LBB13_330
; %bb.321:                              ;   in Loop: Header=BB13_160 Depth=2
	v_cmp_eq_u32_e32 vcc, v7, v42
	s_mov_b64 s[60:61], 0
                                        ; implicit-def: $vgpr6
	s_and_saveexec_b64 s[54:55], vcc
	s_cbranch_execz .LBB13_327
; %bb.322:                              ;   in Loop: Header=BB13_160 Depth=2
	s_mov_b64 s[60:61], exec
	v_mbcnt_lo_u32_b32 v6, s60, 0
	v_mbcnt_hi_u32_b32 v6, s61, v6
	v_cmp_eq_u32_e32 vcc, 0, v6
                                        ; implicit-def: $vgpr7
	s_and_saveexec_b64 s[58:59], vcc
	s_cbranch_execz .LBB13_324
; %bb.323:                              ;   in Loop: Header=BB13_160 Depth=2
	s_bcnt1_i32_b64 s44, s[60:61]
	v_mov_b32_e32 v7, s44
	global_atomic_add v7, v31, v7, s[26:27] offset:512 glc
.LBB13_324:                             ;   in Loop: Header=BB13_160 Depth=2
	s_or_b64 exec, exec, s[58:59]
	s_waitcnt vmcnt(0)
	v_readfirstlane_b32 s44, v7
	v_add_u32_e32 v7, s44, v6
	v_cmp_lt_i32_e32 vcc, v7, v43
	s_mov_b64 s[58:59], 0
	s_mov_b64 s[60:61], 0
                                        ; implicit-def: $vgpr6
	s_and_saveexec_b64 s[62:63], vcc
; %bb.325:                              ;   in Loop: Header=BB13_160 Depth=2
	v_xad_u32 v6, v7, -1, s38
	s_and_b64 s[60:61], s[46:47], exec
	s_and_b64 s[58:59], s[6:7], exec
; %bb.326:                              ;   in Loop: Header=BB13_160 Depth=2
	s_or_b64 exec, exec, s[62:63]
	s_and_b64 s[60:61], s[60:61], exec
	s_and_b64 s[58:59], s[58:59], exec
.LBB13_327:                             ;   in Loop: Header=BB13_160 Depth=2
	s_or_b64 exec, exec, s[54:55]
	s_and_b64 s[54:55], s[60:61], exec
	s_and_b64 s[58:59], s[58:59], exec
	s_andn2_saveexec_b64 s[56:57], s[56:57]
	s_cbranch_execnz .LBB13_331
.LBB13_328:                             ;   in Loop: Header=BB13_160 Depth=2
	s_or_b64 exec, exec, s[56:57]
	s_and_saveexec_b64 s[56:57], s[58:59]
	s_cbranch_execz .LBB13_334
.LBB13_329:                             ;   in Loop: Header=BB13_160 Depth=2
	v_lshlrev_b64 v[8:9], 2, v[4:5]
	v_mov_b32_e32 v7, s67
	v_add_co_u32_e32 v8, vcc, s66, v8
	v_addc_co_u32_e32 v9, vcc, v7, v9, vcc
	global_load_dword v8, v[8:9], off
	s_or_b64 s[54:55], s[54:55], exec
	s_or_b64 exec, exec, s[56:57]
	s_and_saveexec_b64 s[56:57], s[54:55]
	s_cbranch_execnz .LBB13_335
	s_branch .LBB13_336
.LBB13_330:                             ;   in Loop: Header=BB13_160 Depth=2
	s_andn2_saveexec_b64 s[56:57], s[56:57]
	s_cbranch_execz .LBB13_328
.LBB13_331:                             ;   in Loop: Header=BB13_160 Depth=2
	s_mov_b64 s[62:63], exec
	v_mbcnt_lo_u32_b32 v6, s62, 0
	v_mbcnt_hi_u32_b32 v6, s63, v6
	v_cmp_eq_u32_e32 vcc, 0, v6
                                        ; implicit-def: $vgpr7
	s_and_saveexec_b64 s[60:61], vcc
	s_cbranch_execz .LBB13_333
; %bb.332:                              ;   in Loop: Header=BB13_160 Depth=2
	s_bcnt1_i32_b64 s44, s[62:63]
	v_mov_b32_e32 v7, s44
	global_atomic_add v7, v31, v7, s[26:27] offset:384 glc
.LBB13_333:                             ;   in Loop: Header=BB13_160 Depth=2
	s_or_b64 exec, exec, s[60:61]
	s_andn2_b64 s[54:55], s[54:55], exec
	s_and_b64 s[60:61], s[46:47], exec
	s_waitcnt vmcnt(0)
	v_readfirstlane_b32 s44, v7
	s_or_b64 s[54:55], s[54:55], s[60:61]
	s_andn2_b64 s[58:59], s[58:59], exec
	s_and_b64 s[60:61], s[6:7], exec
	v_add_u32_e32 v6, s44, v6
	s_or_b64 s[58:59], s[58:59], s[60:61]
	s_or_b64 exec, exec, s[56:57]
	s_and_saveexec_b64 s[56:57], s[58:59]
	s_cbranch_execnz .LBB13_329
.LBB13_334:                             ;   in Loop: Header=BB13_160 Depth=2
	s_or_b64 exec, exec, s[56:57]
	s_and_saveexec_b64 s[56:57], s[54:55]
	s_cbranch_execz .LBB13_336
.LBB13_335:                             ;   in Loop: Header=BB13_160 Depth=2
	v_ashrrev_i32_e32 v7, 31, v6
	v_lshlrev_b64 v[6:7], 2, v[6:7]
	v_mov_b32_e32 v9, s39
	v_add_co_u32_e32 v6, vcc, s33, v6
	v_addc_co_u32_e32 v7, vcc, v9, v7, vcc
	s_waitcnt vmcnt(0)
	global_store_dword v[6:7], v8, off
.LBB13_336:                             ;   in Loop: Header=BB13_160 Depth=2
	s_or_b64 exec, exec, s[56:57]
	v_cmp_gt_i32_e32 vcc, 0, v11
	v_cndmask_b32_e64 v6, v61, 0, vcc
	v_xor_b32_e32 v7, v6, v11
	s_waitcnt vmcnt(0)
	v_add_u32_e32 v8, 3, v4
	v_cmp_ge_u32_e32 vcc, v7, v42
	s_mov_b64 s[58:59], 0
	s_mov_b64 s[54:55], 0
                                        ; implicit-def: $vgpr6
	s_and_saveexec_b64 s[56:57], vcc
	s_xor_b64 s[56:57], exec, s[56:57]
	s_cbranch_execz .LBB13_346
; %bb.337:                              ;   in Loop: Header=BB13_160 Depth=2
	v_cmp_eq_u32_e32 vcc, v7, v42
	s_mov_b64 s[60:61], 0
                                        ; implicit-def: $vgpr6
	s_and_saveexec_b64 s[54:55], vcc
	s_cbranch_execz .LBB13_343
; %bb.338:                              ;   in Loop: Header=BB13_160 Depth=2
	s_mov_b64 s[60:61], exec
	v_mbcnt_lo_u32_b32 v6, s60, 0
	v_mbcnt_hi_u32_b32 v6, s61, v6
	v_cmp_eq_u32_e32 vcc, 0, v6
                                        ; implicit-def: $vgpr7
	s_and_saveexec_b64 s[58:59], vcc
	s_cbranch_execz .LBB13_340
; %bb.339:                              ;   in Loop: Header=BB13_160 Depth=2
	s_bcnt1_i32_b64 s44, s[60:61]
	v_mov_b32_e32 v7, s44
	global_atomic_add v7, v31, v7, s[26:27] offset:512 glc
.LBB13_340:                             ;   in Loop: Header=BB13_160 Depth=2
	s_or_b64 exec, exec, s[58:59]
	s_waitcnt vmcnt(0)
	v_readfirstlane_b32 s44, v7
	v_add_u32_e32 v7, s44, v6
	v_cmp_lt_i32_e32 vcc, v7, v43
	s_mov_b64 s[58:59], 0
	s_mov_b64 s[60:61], 0
                                        ; implicit-def: $vgpr6
	s_and_saveexec_b64 s[62:63], vcc
; %bb.341:                              ;   in Loop: Header=BB13_160 Depth=2
	v_xad_u32 v6, v7, -1, s38
	s_and_b64 s[60:61], s[46:47], exec
	s_and_b64 s[58:59], s[6:7], exec
; %bb.342:                              ;   in Loop: Header=BB13_160 Depth=2
	s_or_b64 exec, exec, s[62:63]
	s_and_b64 s[60:61], s[60:61], exec
	s_and_b64 s[58:59], s[58:59], exec
.LBB13_343:                             ;   in Loop: Header=BB13_160 Depth=2
	s_or_b64 exec, exec, s[54:55]
	s_and_b64 s[54:55], s[60:61], exec
	s_and_b64 s[58:59], s[58:59], exec
	s_andn2_saveexec_b64 s[56:57], s[56:57]
	s_cbranch_execnz .LBB13_347
.LBB13_344:                             ;   in Loop: Header=BB13_160 Depth=2
	s_or_b64 exec, exec, s[56:57]
	s_and_saveexec_b64 s[56:57], s[58:59]
	s_cbranch_execz .LBB13_350
.LBB13_345:                             ;   in Loop: Header=BB13_160 Depth=2
	v_lshlrev_b64 v[4:5], 2, v[4:5]
	v_mov_b32_e32 v7, s69
	v_add_co_u32_e32 v4, vcc, s68, v4
	v_addc_co_u32_e32 v5, vcc, v7, v5, vcc
	global_load_dword v8, v[4:5], off
	s_or_b64 s[54:55], s[54:55], exec
	s_or_b64 exec, exec, s[56:57]
	s_and_saveexec_b64 s[56:57], s[54:55]
	s_cbranch_execnz .LBB13_351
	s_branch .LBB13_352
.LBB13_346:                             ;   in Loop: Header=BB13_160 Depth=2
	s_andn2_saveexec_b64 s[56:57], s[56:57]
	s_cbranch_execz .LBB13_344
.LBB13_347:                             ;   in Loop: Header=BB13_160 Depth=2
	s_mov_b64 s[62:63], exec
	v_mbcnt_lo_u32_b32 v6, s62, 0
	v_mbcnt_hi_u32_b32 v6, s63, v6
	v_cmp_eq_u32_e32 vcc, 0, v6
                                        ; implicit-def: $vgpr7
	s_and_saveexec_b64 s[60:61], vcc
	s_cbranch_execz .LBB13_349
; %bb.348:                              ;   in Loop: Header=BB13_160 Depth=2
	s_bcnt1_i32_b64 s44, s[62:63]
	v_mov_b32_e32 v7, s44
	global_atomic_add v7, v31, v7, s[26:27] offset:384 glc
.LBB13_349:                             ;   in Loop: Header=BB13_160 Depth=2
	s_or_b64 exec, exec, s[60:61]
	s_andn2_b64 s[54:55], s[54:55], exec
	s_and_b64 s[60:61], s[46:47], exec
	s_waitcnt vmcnt(0)
	v_readfirstlane_b32 s44, v7
	s_or_b64 s[54:55], s[54:55], s[60:61]
	s_andn2_b64 s[58:59], s[58:59], exec
	s_and_b64 s[60:61], s[6:7], exec
	v_add_u32_e32 v6, s44, v6
	s_or_b64 s[58:59], s[58:59], s[60:61]
	s_or_b64 exec, exec, s[56:57]
	s_and_saveexec_b64 s[56:57], s[58:59]
	s_cbranch_execnz .LBB13_345
.LBB13_350:                             ;   in Loop: Header=BB13_160 Depth=2
	s_or_b64 exec, exec, s[56:57]
	s_and_saveexec_b64 s[56:57], s[54:55]
	s_cbranch_execz .LBB13_352
.LBB13_351:                             ;   in Loop: Header=BB13_160 Depth=2
	v_ashrrev_i32_e32 v7, 31, v6
	v_lshlrev_b64 v[4:5], 2, v[6:7]
	v_mov_b32_e32 v6, s39
	v_add_co_u32_e32 v4, vcc, s33, v4
	v_addc_co_u32_e32 v5, vcc, v6, v5, vcc
	s_waitcnt vmcnt(0)
	global_store_dword v[4:5], v8, off
.LBB13_352:                             ;   in Loop: Header=BB13_160 Depth=2
	s_or_b64 exec, exec, s[56:57]
	v_cmp_gt_i32_e32 vcc, 0, v0
	v_cndmask_b32_e64 v5, v61, 0, vcc
	v_xor_b32_e32 v5, v5, v0
	v_lshl_add_u32 v4, v46, 2, s34
	v_cmp_ge_u32_e32 vcc, v5, v42
	s_mov_b64 s[58:59], 0
	s_mov_b64 s[54:55], 0
                                        ; implicit-def: $vgpr0
                                        ; implicit-def: $vgpr6
	s_and_saveexec_b64 s[56:57], vcc
	s_xor_b64 s[56:57], exec, s[56:57]
	s_cbranch_execz .LBB13_362
; %bb.353:                              ;   in Loop: Header=BB13_160 Depth=2
	v_cmp_eq_u32_e32 vcc, v5, v42
	s_mov_b64 s[60:61], 0
                                        ; implicit-def: $vgpr6
	s_and_saveexec_b64 s[54:55], vcc
	s_cbranch_execz .LBB13_359
; %bb.354:                              ;   in Loop: Header=BB13_160 Depth=2
	s_mov_b64 s[60:61], exec
	v_mbcnt_lo_u32_b32 v0, s60, 0
	v_mbcnt_hi_u32_b32 v0, s61, v0
	v_cmp_eq_u32_e32 vcc, 0, v0
                                        ; implicit-def: $vgpr5
	s_and_saveexec_b64 s[58:59], vcc
	s_cbranch_execz .LBB13_356
; %bb.355:                              ;   in Loop: Header=BB13_160 Depth=2
	s_bcnt1_i32_b64 s44, s[60:61]
	v_mov_b32_e32 v5, s44
	global_atomic_add v5, v31, v5, s[26:27] offset:512 glc
.LBB13_356:                             ;   in Loop: Header=BB13_160 Depth=2
	s_or_b64 exec, exec, s[58:59]
	s_waitcnt vmcnt(0)
	v_readfirstlane_b32 s44, v5
	v_add_u32_e32 v0, s44, v0
	v_cmp_lt_i32_e32 vcc, v0, v43
	s_mov_b64 s[58:59], 0
	s_mov_b64 s[60:61], 0
                                        ; implicit-def: $vgpr6
	s_and_saveexec_b64 s[62:63], vcc
	s_xor_b64 s[62:63], exec, s[62:63]
; %bb.357:                              ;   in Loop: Header=BB13_160 Depth=2
	v_xad_u32 v6, v0, -1, s38
	s_and_b64 s[60:61], s[46:47], exec
	s_and_b64 s[58:59], s[6:7], exec
; %bb.358:                              ;   in Loop: Header=BB13_160 Depth=2
	s_or_b64 exec, exec, s[62:63]
	s_and_b64 s[60:61], s[60:61], exec
	s_and_b64 s[58:59], s[58:59], exec
.LBB13_359:                             ;   in Loop: Header=BB13_160 Depth=2
	s_or_b64 exec, exec, s[54:55]
	s_and_b64 s[54:55], s[60:61], exec
	s_and_b64 s[58:59], s[58:59], exec
	v_mov_b32_e32 v0, v4
	s_andn2_saveexec_b64 s[56:57], s[56:57]
	s_cbranch_execnz .LBB13_363
.LBB13_360:                             ;   in Loop: Header=BB13_160 Depth=2
	s_or_b64 exec, exec, s[56:57]
	v_ashrrev_i32_e32 v5, 31, v4
	s_and_saveexec_b64 s[56:57], s[58:59]
	s_cbranch_execz .LBB13_366
.LBB13_361:                             ;   in Loop: Header=BB13_160 Depth=2
	s_waitcnt vmcnt(0)
	v_lshlrev_b64 v[8:9], 2, v[4:5]
	v_mov_b32_e32 v0, s25
	v_add_co_u32_e32 v8, vcc, s24, v8
	v_addc_co_u32_e32 v9, vcc, v0, v9, vcc
	global_load_dword v0, v[8:9], off
	s_or_b64 s[54:55], s[54:55], exec
	s_or_b64 exec, exec, s[56:57]
	s_and_saveexec_b64 s[56:57], s[54:55]
	s_cbranch_execnz .LBB13_367
	s_branch .LBB13_368
.LBB13_362:                             ;   in Loop: Header=BB13_160 Depth=2
	s_andn2_saveexec_b64 s[56:57], s[56:57]
	s_cbranch_execz .LBB13_360
.LBB13_363:                             ;   in Loop: Header=BB13_160 Depth=2
	s_mov_b64 s[62:63], exec
	v_mbcnt_lo_u32_b32 v0, s62, 0
	v_mbcnt_hi_u32_b32 v0, s63, v0
	v_cmp_eq_u32_e32 vcc, 0, v0
                                        ; implicit-def: $vgpr5
	s_and_saveexec_b64 s[60:61], vcc
	s_cbranch_execz .LBB13_365
; %bb.364:                              ;   in Loop: Header=BB13_160 Depth=2
	s_bcnt1_i32_b64 s44, s[62:63]
	v_mov_b32_e32 v5, s44
	global_atomic_add v5, v31, v5, s[26:27] offset:384 glc
.LBB13_365:                             ;   in Loop: Header=BB13_160 Depth=2
	s_or_b64 exec, exec, s[60:61]
	s_andn2_b64 s[54:55], s[54:55], exec
	s_and_b64 s[60:61], s[46:47], exec
	s_waitcnt vmcnt(0)
	v_readfirstlane_b32 s44, v5
	s_or_b64 s[54:55], s[54:55], s[60:61]
	s_andn2_b64 s[58:59], s[58:59], exec
	s_and_b64 s[60:61], s[6:7], exec
	v_add_u32_e32 v6, s44, v0
	s_or_b64 s[58:59], s[58:59], s[60:61]
	v_mov_b32_e32 v0, v4
	s_or_b64 exec, exec, s[56:57]
	v_ashrrev_i32_e32 v5, 31, v4
	s_and_saveexec_b64 s[56:57], s[58:59]
	s_cbranch_execnz .LBB13_361
.LBB13_366:                             ;   in Loop: Header=BB13_160 Depth=2
	s_or_b64 exec, exec, s[56:57]
	s_and_saveexec_b64 s[56:57], s[54:55]
	s_cbranch_execz .LBB13_368
.LBB13_367:                             ;   in Loop: Header=BB13_160 Depth=2
	v_ashrrev_i32_e32 v7, 31, v6
	v_lshlrev_b64 v[6:7], 2, v[6:7]
	s_waitcnt vmcnt(0)
	v_mov_b32_e32 v8, s39
	v_add_co_u32_e32 v6, vcc, s33, v6
	v_addc_co_u32_e32 v7, vcc, v8, v7, vcc
	global_store_dword v[6:7], v0, off
.LBB13_368:                             ;   in Loop: Header=BB13_160 Depth=2
	s_or_b64 exec, exec, s[56:57]
	v_cmp_gt_i32_e32 vcc, 0, v1
	s_waitcnt vmcnt(0)
	v_cndmask_b32_e64 v0, v61, 0, vcc
	v_xor_b32_e32 v1, v0, v1
	v_add_u32_e32 v6, 1, v4
	v_cmp_ge_u32_e32 vcc, v1, v42
	s_mov_b64 s[58:59], 0
	s_mov_b64 s[54:55], 0
                                        ; implicit-def: $vgpr0
	s_and_saveexec_b64 s[56:57], vcc
	s_xor_b64 s[56:57], exec, s[56:57]
	s_cbranch_execz .LBB13_378
; %bb.369:                              ;   in Loop: Header=BB13_160 Depth=2
	v_cmp_eq_u32_e32 vcc, v1, v42
	s_mov_b64 s[60:61], 0
                                        ; implicit-def: $vgpr0
	s_and_saveexec_b64 s[54:55], vcc
	s_cbranch_execz .LBB13_375
; %bb.370:                              ;   in Loop: Header=BB13_160 Depth=2
	s_mov_b64 s[60:61], exec
	v_mbcnt_lo_u32_b32 v0, s60, 0
	v_mbcnt_hi_u32_b32 v0, s61, v0
	v_cmp_eq_u32_e32 vcc, 0, v0
                                        ; implicit-def: $vgpr1
	s_and_saveexec_b64 s[58:59], vcc
	s_cbranch_execz .LBB13_372
; %bb.371:                              ;   in Loop: Header=BB13_160 Depth=2
	s_bcnt1_i32_b64 s44, s[60:61]
	v_mov_b32_e32 v1, s44
	global_atomic_add v1, v31, v1, s[26:27] offset:512 glc
.LBB13_372:                             ;   in Loop: Header=BB13_160 Depth=2
	s_or_b64 exec, exec, s[58:59]
	s_waitcnt vmcnt(0)
	v_readfirstlane_b32 s44, v1
	v_add_u32_e32 v1, s44, v0
	v_cmp_lt_i32_e32 vcc, v1, v43
	s_mov_b64 s[58:59], 0
	s_mov_b64 s[60:61], 0
                                        ; implicit-def: $vgpr0
	s_and_saveexec_b64 s[62:63], vcc
; %bb.373:                              ;   in Loop: Header=BB13_160 Depth=2
	v_xad_u32 v0, v1, -1, s38
	s_and_b64 s[60:61], s[46:47], exec
	s_and_b64 s[58:59], s[6:7], exec
; %bb.374:                              ;   in Loop: Header=BB13_160 Depth=2
	s_or_b64 exec, exec, s[62:63]
	s_and_b64 s[60:61], s[60:61], exec
	s_and_b64 s[58:59], s[58:59], exec
.LBB13_375:                             ;   in Loop: Header=BB13_160 Depth=2
	s_or_b64 exec, exec, s[54:55]
	s_and_b64 s[54:55], s[60:61], exec
	s_and_b64 s[58:59], s[58:59], exec
	s_andn2_saveexec_b64 s[56:57], s[56:57]
	s_cbranch_execnz .LBB13_379
.LBB13_376:                             ;   in Loop: Header=BB13_160 Depth=2
	s_or_b64 exec, exec, s[56:57]
	s_and_saveexec_b64 s[56:57], s[58:59]
	s_cbranch_execz .LBB13_382
.LBB13_377:                             ;   in Loop: Header=BB13_160 Depth=2
	v_lshlrev_b64 v[6:7], 2, v[4:5]
	v_mov_b32_e32 v1, s35
	v_add_co_u32_e32 v6, vcc, s29, v6
	v_addc_co_u32_e32 v7, vcc, v1, v7, vcc
	global_load_dword v6, v[6:7], off
	s_or_b64 s[54:55], s[54:55], exec
	s_or_b64 exec, exec, s[56:57]
	s_and_saveexec_b64 s[56:57], s[54:55]
	s_cbranch_execnz .LBB13_383
	s_branch .LBB13_384
.LBB13_378:                             ;   in Loop: Header=BB13_160 Depth=2
	s_andn2_saveexec_b64 s[56:57], s[56:57]
	s_cbranch_execz .LBB13_376
.LBB13_379:                             ;   in Loop: Header=BB13_160 Depth=2
	s_mov_b64 s[62:63], exec
	v_mbcnt_lo_u32_b32 v0, s62, 0
	v_mbcnt_hi_u32_b32 v0, s63, v0
	v_cmp_eq_u32_e32 vcc, 0, v0
                                        ; implicit-def: $vgpr1
	s_and_saveexec_b64 s[60:61], vcc
	s_cbranch_execz .LBB13_381
; %bb.380:                              ;   in Loop: Header=BB13_160 Depth=2
	s_bcnt1_i32_b64 s44, s[62:63]
	v_mov_b32_e32 v1, s44
	global_atomic_add v1, v31, v1, s[26:27] offset:384 glc
.LBB13_381:                             ;   in Loop: Header=BB13_160 Depth=2
	s_or_b64 exec, exec, s[60:61]
	s_andn2_b64 s[54:55], s[54:55], exec
	s_and_b64 s[60:61], s[46:47], exec
	s_waitcnt vmcnt(0)
	v_readfirstlane_b32 s44, v1
	s_or_b64 s[54:55], s[54:55], s[60:61]
	s_andn2_b64 s[58:59], s[58:59], exec
	s_and_b64 s[60:61], s[6:7], exec
	v_add_u32_e32 v0, s44, v0
	s_or_b64 s[58:59], s[58:59], s[60:61]
	s_or_b64 exec, exec, s[56:57]
	s_and_saveexec_b64 s[56:57], s[58:59]
	s_cbranch_execnz .LBB13_377
.LBB13_382:                             ;   in Loop: Header=BB13_160 Depth=2
	s_or_b64 exec, exec, s[56:57]
	s_and_saveexec_b64 s[56:57], s[54:55]
	s_cbranch_execz .LBB13_384
.LBB13_383:                             ;   in Loop: Header=BB13_160 Depth=2
	v_ashrrev_i32_e32 v1, 31, v0
	v_lshlrev_b64 v[0:1], 2, v[0:1]
	v_mov_b32_e32 v7, s39
	v_add_co_u32_e32 v0, vcc, s33, v0
	v_addc_co_u32_e32 v1, vcc, v7, v1, vcc
	s_waitcnt vmcnt(0)
	global_store_dword v[0:1], v6, off
.LBB13_384:                             ;   in Loop: Header=BB13_160 Depth=2
	s_or_b64 exec, exec, s[56:57]
	v_cmp_gt_i32_e32 vcc, 0, v2
	v_cndmask_b32_e64 v0, v61, 0, vcc
	v_xor_b32_e32 v1, v0, v2
	s_waitcnt vmcnt(0)
	v_add_u32_e32 v6, 2, v4
	v_cmp_ge_u32_e32 vcc, v1, v42
	s_mov_b64 s[58:59], 0
	s_mov_b64 s[54:55], 0
                                        ; implicit-def: $vgpr0
	s_and_saveexec_b64 s[56:57], vcc
	s_xor_b64 s[56:57], exec, s[56:57]
	s_cbranch_execz .LBB13_394
; %bb.385:                              ;   in Loop: Header=BB13_160 Depth=2
	v_cmp_eq_u32_e32 vcc, v1, v42
	s_mov_b64 s[60:61], 0
                                        ; implicit-def: $vgpr0
	s_and_saveexec_b64 s[54:55], vcc
	s_cbranch_execz .LBB13_391
; %bb.386:                              ;   in Loop: Header=BB13_160 Depth=2
	s_mov_b64 s[60:61], exec
	v_mbcnt_lo_u32_b32 v0, s60, 0
	v_mbcnt_hi_u32_b32 v0, s61, v0
	v_cmp_eq_u32_e32 vcc, 0, v0
                                        ; implicit-def: $vgpr1
	s_and_saveexec_b64 s[58:59], vcc
	s_cbranch_execz .LBB13_388
; %bb.387:                              ;   in Loop: Header=BB13_160 Depth=2
	s_bcnt1_i32_b64 s44, s[60:61]
	v_mov_b32_e32 v1, s44
	global_atomic_add v1, v31, v1, s[26:27] offset:512 glc
.LBB13_388:                             ;   in Loop: Header=BB13_160 Depth=2
	s_or_b64 exec, exec, s[58:59]
	s_waitcnt vmcnt(0)
	v_readfirstlane_b32 s44, v1
	v_add_u32_e32 v1, s44, v0
	v_cmp_lt_i32_e32 vcc, v1, v43
	s_mov_b64 s[58:59], 0
	s_mov_b64 s[60:61], 0
                                        ; implicit-def: $vgpr0
	s_and_saveexec_b64 s[62:63], vcc
; %bb.389:                              ;   in Loop: Header=BB13_160 Depth=2
	v_xad_u32 v0, v1, -1, s38
	s_and_b64 s[60:61], s[46:47], exec
	s_and_b64 s[58:59], s[6:7], exec
; %bb.390:                              ;   in Loop: Header=BB13_160 Depth=2
	s_or_b64 exec, exec, s[62:63]
	s_and_b64 s[60:61], s[60:61], exec
	s_and_b64 s[58:59], s[58:59], exec
.LBB13_391:                             ;   in Loop: Header=BB13_160 Depth=2
	s_or_b64 exec, exec, s[54:55]
	s_and_b64 s[54:55], s[60:61], exec
	s_and_b64 s[58:59], s[58:59], exec
	s_andn2_saveexec_b64 s[56:57], s[56:57]
	s_cbranch_execnz .LBB13_395
.LBB13_392:                             ;   in Loop: Header=BB13_160 Depth=2
	s_or_b64 exec, exec, s[56:57]
	s_and_saveexec_b64 s[56:57], s[58:59]
	s_cbranch_execz .LBB13_398
.LBB13_393:                             ;   in Loop: Header=BB13_160 Depth=2
	v_lshlrev_b64 v[6:7], 2, v[4:5]
	v_mov_b32_e32 v1, s67
	v_add_co_u32_e32 v6, vcc, s66, v6
	v_addc_co_u32_e32 v7, vcc, v1, v7, vcc
	global_load_dword v6, v[6:7], off
	s_or_b64 s[54:55], s[54:55], exec
	s_or_b64 exec, exec, s[56:57]
	s_and_saveexec_b64 s[56:57], s[54:55]
	s_cbranch_execnz .LBB13_399
	s_branch .LBB13_400
.LBB13_394:                             ;   in Loop: Header=BB13_160 Depth=2
	s_andn2_saveexec_b64 s[56:57], s[56:57]
	s_cbranch_execz .LBB13_392
.LBB13_395:                             ;   in Loop: Header=BB13_160 Depth=2
	s_mov_b64 s[62:63], exec
	v_mbcnt_lo_u32_b32 v0, s62, 0
	v_mbcnt_hi_u32_b32 v0, s63, v0
	v_cmp_eq_u32_e32 vcc, 0, v0
                                        ; implicit-def: $vgpr1
	s_and_saveexec_b64 s[60:61], vcc
	s_cbranch_execz .LBB13_397
; %bb.396:                              ;   in Loop: Header=BB13_160 Depth=2
	s_bcnt1_i32_b64 s44, s[62:63]
	v_mov_b32_e32 v1, s44
	global_atomic_add v1, v31, v1, s[26:27] offset:384 glc
.LBB13_397:                             ;   in Loop: Header=BB13_160 Depth=2
	s_or_b64 exec, exec, s[60:61]
	s_andn2_b64 s[54:55], s[54:55], exec
	s_and_b64 s[60:61], s[46:47], exec
	s_waitcnt vmcnt(0)
	v_readfirstlane_b32 s44, v1
	s_or_b64 s[54:55], s[54:55], s[60:61]
	s_andn2_b64 s[58:59], s[58:59], exec
	s_and_b64 s[60:61], s[6:7], exec
	v_add_u32_e32 v0, s44, v0
	s_or_b64 s[58:59], s[58:59], s[60:61]
	s_or_b64 exec, exec, s[56:57]
	s_and_saveexec_b64 s[56:57], s[58:59]
	s_cbranch_execnz .LBB13_393
.LBB13_398:                             ;   in Loop: Header=BB13_160 Depth=2
	s_or_b64 exec, exec, s[56:57]
	s_and_saveexec_b64 s[56:57], s[54:55]
	s_cbranch_execz .LBB13_400
.LBB13_399:                             ;   in Loop: Header=BB13_160 Depth=2
	v_ashrrev_i32_e32 v1, 31, v0
	v_lshlrev_b64 v[0:1], 2, v[0:1]
	v_mov_b32_e32 v2, s39
	v_add_co_u32_e32 v0, vcc, s33, v0
	v_addc_co_u32_e32 v1, vcc, v2, v1, vcc
	s_waitcnt vmcnt(0)
	global_store_dword v[0:1], v6, off
.LBB13_400:                             ;   in Loop: Header=BB13_160 Depth=2
	s_or_b64 exec, exec, s[56:57]
	v_cmp_gt_i32_e32 vcc, 0, v3
	v_cndmask_b32_e64 v0, v61, 0, vcc
	v_xor_b32_e32 v1, v0, v3
	v_add_u32_e32 v2, 3, v4
	v_cmp_ge_u32_e32 vcc, v1, v42
	s_mov_b64 s[58:59], 0
	s_mov_b64 s[54:55], 0
                                        ; implicit-def: $vgpr0
	s_and_saveexec_b64 s[56:57], vcc
	s_xor_b64 s[56:57], exec, s[56:57]
	s_cbranch_execz .LBB13_410
; %bb.401:                              ;   in Loop: Header=BB13_160 Depth=2
	v_cmp_eq_u32_e32 vcc, v1, v42
	s_mov_b64 s[60:61], 0
                                        ; implicit-def: $vgpr0
	s_and_saveexec_b64 s[54:55], vcc
	s_cbranch_execz .LBB13_407
; %bb.402:                              ;   in Loop: Header=BB13_160 Depth=2
	s_mov_b64 s[60:61], exec
	v_mbcnt_lo_u32_b32 v0, s60, 0
	v_mbcnt_hi_u32_b32 v0, s61, v0
	v_cmp_eq_u32_e32 vcc, 0, v0
                                        ; implicit-def: $vgpr1
	s_and_saveexec_b64 s[58:59], vcc
	s_cbranch_execz .LBB13_404
; %bb.403:                              ;   in Loop: Header=BB13_160 Depth=2
	s_bcnt1_i32_b64 s44, s[60:61]
	v_mov_b32_e32 v1, s44
	global_atomic_add v1, v31, v1, s[26:27] offset:512 glc
.LBB13_404:                             ;   in Loop: Header=BB13_160 Depth=2
	s_or_b64 exec, exec, s[58:59]
	s_waitcnt vmcnt(0)
	v_readfirstlane_b32 s44, v1
	v_add_u32_e32 v1, s44, v0
	v_cmp_lt_i32_e32 vcc, v1, v43
	s_mov_b64 s[58:59], 0
	s_mov_b64 s[60:61], 0
                                        ; implicit-def: $vgpr0
	s_and_saveexec_b64 s[62:63], vcc
; %bb.405:                              ;   in Loop: Header=BB13_160 Depth=2
	v_xad_u32 v0, v1, -1, s38
	s_and_b64 s[60:61], s[46:47], exec
	s_and_b64 s[58:59], s[6:7], exec
; %bb.406:                              ;   in Loop: Header=BB13_160 Depth=2
	s_or_b64 exec, exec, s[62:63]
	s_and_b64 s[60:61], s[60:61], exec
	s_and_b64 s[58:59], s[58:59], exec
.LBB13_407:                             ;   in Loop: Header=BB13_160 Depth=2
	s_or_b64 exec, exec, s[54:55]
	s_and_b64 s[54:55], s[60:61], exec
	s_and_b64 s[58:59], s[58:59], exec
	s_andn2_saveexec_b64 s[56:57], s[56:57]
	s_cbranch_execnz .LBB13_411
.LBB13_408:                             ;   in Loop: Header=BB13_160 Depth=2
	s_or_b64 exec, exec, s[56:57]
	s_and_saveexec_b64 s[56:57], s[58:59]
	s_cbranch_execz .LBB13_414
.LBB13_409:                             ;   in Loop: Header=BB13_160 Depth=2
	v_lshlrev_b64 v[2:3], 2, v[4:5]
	v_mov_b32_e32 v1, s69
	v_add_co_u32_e32 v2, vcc, s68, v2
	v_addc_co_u32_e32 v3, vcc, v1, v3, vcc
	global_load_dword v2, v[2:3], off
	s_or_b64 s[54:55], s[54:55], exec
	s_or_b64 exec, exec, s[56:57]
	s_and_saveexec_b64 s[56:57], s[54:55]
	s_cbranch_execz .LBB13_159
	s_branch .LBB13_415
.LBB13_410:                             ;   in Loop: Header=BB13_160 Depth=2
	s_andn2_saveexec_b64 s[56:57], s[56:57]
	s_cbranch_execz .LBB13_408
.LBB13_411:                             ;   in Loop: Header=BB13_160 Depth=2
	s_mov_b64 s[62:63], exec
	v_mbcnt_lo_u32_b32 v0, s62, 0
	v_mbcnt_hi_u32_b32 v0, s63, v0
	v_cmp_eq_u32_e32 vcc, 0, v0
                                        ; implicit-def: $vgpr1
	s_and_saveexec_b64 s[60:61], vcc
	s_cbranch_execz .LBB13_413
; %bb.412:                              ;   in Loop: Header=BB13_160 Depth=2
	s_bcnt1_i32_b64 s44, s[62:63]
	v_mov_b32_e32 v1, s44
	global_atomic_add v1, v31, v1, s[26:27] offset:384 glc
.LBB13_413:                             ;   in Loop: Header=BB13_160 Depth=2
	s_or_b64 exec, exec, s[60:61]
	s_andn2_b64 s[54:55], s[54:55], exec
	s_and_b64 s[60:61], s[46:47], exec
	s_waitcnt vmcnt(0)
	v_readfirstlane_b32 s44, v1
	s_or_b64 s[54:55], s[54:55], s[60:61]
	s_andn2_b64 s[58:59], s[58:59], exec
	s_and_b64 s[60:61], s[6:7], exec
	v_add_u32_e32 v0, s44, v0
	s_or_b64 s[58:59], s[58:59], s[60:61]
	s_or_b64 exec, exec, s[56:57]
	s_and_saveexec_b64 s[56:57], s[58:59]
	s_cbranch_execnz .LBB13_409
.LBB13_414:                             ;   in Loop: Header=BB13_160 Depth=2
	s_or_b64 exec, exec, s[56:57]
	s_and_saveexec_b64 s[56:57], s[54:55]
	s_cbranch_execz .LBB13_159
.LBB13_415:                             ;   in Loop: Header=BB13_160 Depth=2
	v_ashrrev_i32_e32 v1, 31, v0
	v_lshlrev_b64 v[0:1], 2, v[0:1]
	v_mov_b32_e32 v3, s39
	v_add_co_u32_e32 v0, vcc, s33, v0
	v_addc_co_u32_e32 v1, vcc, v3, v1, vcc
	s_waitcnt vmcnt(0)
	global_store_dword v[0:1], v2, off
	s_branch .LBB13_159
.LBB13_416:                             ;   in Loop: Header=BB13_18 Depth=1
	s_or_b64 exec, exec, s[52:53]
	s_or_b64 exec, exec, s[4:5]
	v_cmp_gt_i32_e32 vcc, s30, v44
	s_and_saveexec_b64 s[4:5], vcc
	s_cbranch_execz .LBB13_483
.LBB13_417:                             ;   in Loop: Header=BB13_18 Depth=1
	v_lshl_add_u32 v4, v44, 2, s34
	s_mov_b64 s[52:53], 0
	s_branch .LBB13_419
.LBB13_418:                             ;   in Loop: Header=BB13_419 Depth=2
	s_or_b64 exec, exec, s[56:57]
	v_add_u32_e32 v44, s28, v44
	v_cmp_le_i32_e32 vcc, s30, v44
	s_or_b64 s[52:53], vcc, s[52:53]
	v_add_u32_e32 v4, s65, v4
	s_andn2_b64 exec, exec, s[52:53]
	s_cbranch_execz .LBB13_483
.LBB13_419:                             ;   Parent Loop BB13_18 Depth=1
                                        ; =>  This Inner Loop Header: Depth=2
	v_ashrrev_i32_e32 v45, 31, v44
	v_lshlrev_b64 v[0:1], 4, v[44:45]
	s_waitcnt vmcnt(0)
	v_mov_b32_e32 v2, s70
	v_add_co_u32_e32 v0, vcc, s64, v0
	v_addc_co_u32_e32 v1, vcc, v2, v1, vcc
	global_load_dwordx4 v[0:3], v[0:1], off
	s_mov_b64 s[58:59], 0
	s_mov_b64 s[54:55], 0
                                        ; implicit-def: $vgpr6
	s_waitcnt vmcnt(0)
	v_cmp_gt_i32_e32 vcc, 0, v0
	v_cndmask_b32_e64 v5, v61, 0, vcc
	v_xor_b32_e32 v5, v5, v0
	s_waitcnt lgkmcnt(0)
	v_cmp_ge_u32_e32 vcc, v5, v42
                                        ; implicit-def: $vgpr0
	s_and_saveexec_b64 s[56:57], vcc
	s_xor_b64 s[56:57], exec, s[56:57]
	s_cbranch_execz .LBB13_429
; %bb.420:                              ;   in Loop: Header=BB13_419 Depth=2
	v_cmp_eq_u32_e32 vcc, v5, v42
	s_mov_b64 s[60:61], 0
                                        ; implicit-def: $vgpr6
	s_and_saveexec_b64 s[54:55], vcc
	s_cbranch_execz .LBB13_426
; %bb.421:                              ;   in Loop: Header=BB13_419 Depth=2
	s_mov_b64 s[60:61], exec
	v_mbcnt_lo_u32_b32 v0, s60, 0
	v_mbcnt_hi_u32_b32 v0, s61, v0
	v_cmp_eq_u32_e32 vcc, 0, v0
                                        ; implicit-def: $vgpr5
	s_and_saveexec_b64 s[58:59], vcc
	s_cbranch_execz .LBB13_423
; %bb.422:                              ;   in Loop: Header=BB13_419 Depth=2
	s_bcnt1_i32_b64 s44, s[60:61]
	v_mov_b32_e32 v5, s44
	global_atomic_add v5, v31, v5, s[26:27] offset:512 glc
.LBB13_423:                             ;   in Loop: Header=BB13_419 Depth=2
	s_or_b64 exec, exec, s[58:59]
	s_waitcnt vmcnt(0)
	v_readfirstlane_b32 s44, v5
	v_add_u32_e32 v0, s44, v0
	v_cmp_lt_i32_e32 vcc, v0, v43
	s_mov_b64 s[58:59], 0
	s_mov_b64 s[60:61], 0
                                        ; implicit-def: $vgpr6
	s_and_saveexec_b64 s[62:63], vcc
	s_xor_b64 s[62:63], exec, s[62:63]
; %bb.424:                              ;   in Loop: Header=BB13_419 Depth=2
	s_mov_b64 s[60:61], exec
	v_xad_u32 v6, v0, -1, s38
	s_and_b64 s[58:59], s[6:7], exec
; %bb.425:                              ;   in Loop: Header=BB13_419 Depth=2
	s_or_b64 exec, exec, s[62:63]
	s_and_b64 s[60:61], s[60:61], exec
	s_and_b64 s[58:59], s[58:59], exec
.LBB13_426:                             ;   in Loop: Header=BB13_419 Depth=2
	s_or_b64 exec, exec, s[54:55]
	s_and_b64 s[54:55], s[60:61], exec
	s_and_b64 s[58:59], s[58:59], exec
	v_mov_b32_e32 v0, v4
	s_andn2_saveexec_b64 s[56:57], s[56:57]
	s_cbranch_execnz .LBB13_430
.LBB13_427:                             ;   in Loop: Header=BB13_419 Depth=2
	s_or_b64 exec, exec, s[56:57]
	v_ashrrev_i32_e32 v5, 31, v4
	s_and_saveexec_b64 s[56:57], s[58:59]
	s_cbranch_execz .LBB13_433
.LBB13_428:                             ;   in Loop: Header=BB13_419 Depth=2
	v_lshlrev_b64 v[8:9], 2, v[4:5]
	v_mov_b32_e32 v0, s25
	v_add_co_u32_e32 v8, vcc, s24, v8
	v_addc_co_u32_e32 v9, vcc, v0, v9, vcc
	global_load_dword v0, v[8:9], off
	s_or_b64 s[54:55], s[54:55], exec
	s_or_b64 exec, exec, s[56:57]
	s_and_saveexec_b64 s[56:57], s[54:55]
	s_cbranch_execnz .LBB13_434
	s_branch .LBB13_435
.LBB13_429:                             ;   in Loop: Header=BB13_419 Depth=2
	s_andn2_saveexec_b64 s[56:57], s[56:57]
	s_cbranch_execz .LBB13_427
.LBB13_430:                             ;   in Loop: Header=BB13_419 Depth=2
	s_mov_b64 s[62:63], exec
	v_mbcnt_lo_u32_b32 v0, s62, 0
	v_mbcnt_hi_u32_b32 v0, s63, v0
	v_cmp_eq_u32_e32 vcc, 0, v0
                                        ; implicit-def: $vgpr5
	s_and_saveexec_b64 s[60:61], vcc
	s_cbranch_execz .LBB13_432
; %bb.431:                              ;   in Loop: Header=BB13_419 Depth=2
	s_bcnt1_i32_b64 s44, s[62:63]
	v_mov_b32_e32 v5, s44
	global_atomic_add v5, v31, v5, s[26:27] offset:384 glc
.LBB13_432:                             ;   in Loop: Header=BB13_419 Depth=2
	s_or_b64 exec, exec, s[60:61]
	s_andn2_b64 s[54:55], s[54:55], exec
	s_and_b64 s[60:61], s[46:47], exec
	s_waitcnt vmcnt(0)
	v_readfirstlane_b32 s44, v5
	s_or_b64 s[54:55], s[54:55], s[60:61]
	s_andn2_b64 s[58:59], s[58:59], exec
	s_and_b64 s[60:61], s[6:7], exec
	v_add_u32_e32 v6, s44, v0
	s_or_b64 s[58:59], s[58:59], s[60:61]
	v_mov_b32_e32 v0, v4
	s_or_b64 exec, exec, s[56:57]
	v_ashrrev_i32_e32 v5, 31, v4
	s_and_saveexec_b64 s[56:57], s[58:59]
	s_cbranch_execnz .LBB13_428
.LBB13_433:                             ;   in Loop: Header=BB13_419 Depth=2
	s_or_b64 exec, exec, s[56:57]
	s_and_saveexec_b64 s[56:57], s[54:55]
	s_cbranch_execz .LBB13_435
.LBB13_434:                             ;   in Loop: Header=BB13_419 Depth=2
	v_ashrrev_i32_e32 v7, 31, v6
	v_lshlrev_b64 v[6:7], 2, v[6:7]
	v_mov_b32_e32 v8, s39
	v_add_co_u32_e32 v6, vcc, s33, v6
	v_addc_co_u32_e32 v7, vcc, v8, v7, vcc
	s_waitcnt vmcnt(0)
	global_store_dword v[6:7], v0, off
.LBB13_435:                             ;   in Loop: Header=BB13_419 Depth=2
	s_or_b64 exec, exec, s[56:57]
	v_cmp_gt_i32_e32 vcc, 0, v1
	s_waitcnt vmcnt(0)
	v_cndmask_b32_e64 v0, v61, 0, vcc
	v_xor_b32_e32 v1, v0, v1
	v_add_u32_e32 v6, 1, v4
	v_cmp_ge_u32_e32 vcc, v1, v42
	s_mov_b64 s[58:59], 0
	s_mov_b64 s[54:55], 0
                                        ; implicit-def: $vgpr0
	s_and_saveexec_b64 s[56:57], vcc
	s_xor_b64 s[56:57], exec, s[56:57]
	s_cbranch_execz .LBB13_445
; %bb.436:                              ;   in Loop: Header=BB13_419 Depth=2
	v_cmp_eq_u32_e32 vcc, v1, v42
	s_mov_b64 s[60:61], 0
                                        ; implicit-def: $vgpr0
	s_and_saveexec_b64 s[54:55], vcc
	s_cbranch_execz .LBB13_442
; %bb.437:                              ;   in Loop: Header=BB13_419 Depth=2
	s_mov_b64 s[60:61], exec
	v_mbcnt_lo_u32_b32 v0, s60, 0
	v_mbcnt_hi_u32_b32 v0, s61, v0
	v_cmp_eq_u32_e32 vcc, 0, v0
                                        ; implicit-def: $vgpr1
	s_and_saveexec_b64 s[58:59], vcc
	s_cbranch_execz .LBB13_439
; %bb.438:                              ;   in Loop: Header=BB13_419 Depth=2
	s_bcnt1_i32_b64 s44, s[60:61]
	v_mov_b32_e32 v1, s44
	global_atomic_add v1, v31, v1, s[26:27] offset:512 glc
.LBB13_439:                             ;   in Loop: Header=BB13_419 Depth=2
	s_or_b64 exec, exec, s[58:59]
	s_waitcnt vmcnt(0)
	v_readfirstlane_b32 s44, v1
	v_add_u32_e32 v1, s44, v0
	v_cmp_lt_i32_e32 vcc, v1, v43
	s_mov_b64 s[58:59], 0
	s_mov_b64 s[60:61], 0
                                        ; implicit-def: $vgpr0
	s_and_saveexec_b64 s[62:63], vcc
; %bb.440:                              ;   in Loop: Header=BB13_419 Depth=2
	v_xad_u32 v0, v1, -1, s38
	s_and_b64 s[60:61], s[46:47], exec
	s_and_b64 s[58:59], s[6:7], exec
; %bb.441:                              ;   in Loop: Header=BB13_419 Depth=2
	s_or_b64 exec, exec, s[62:63]
	s_and_b64 s[60:61], s[60:61], exec
	s_and_b64 s[58:59], s[58:59], exec
.LBB13_442:                             ;   in Loop: Header=BB13_419 Depth=2
	s_or_b64 exec, exec, s[54:55]
	s_and_b64 s[54:55], s[60:61], exec
	s_and_b64 s[58:59], s[58:59], exec
	s_andn2_saveexec_b64 s[56:57], s[56:57]
	s_cbranch_execnz .LBB13_446
.LBB13_443:                             ;   in Loop: Header=BB13_419 Depth=2
	s_or_b64 exec, exec, s[56:57]
	s_and_saveexec_b64 s[56:57], s[58:59]
	s_cbranch_execz .LBB13_449
.LBB13_444:                             ;   in Loop: Header=BB13_419 Depth=2
	v_lshlrev_b64 v[6:7], 2, v[4:5]
	v_mov_b32_e32 v1, s35
	v_add_co_u32_e32 v6, vcc, s29, v6
	v_addc_co_u32_e32 v7, vcc, v1, v7, vcc
	global_load_dword v6, v[6:7], off
	s_or_b64 s[54:55], s[54:55], exec
	s_or_b64 exec, exec, s[56:57]
	s_and_saveexec_b64 s[56:57], s[54:55]
	s_cbranch_execnz .LBB13_450
	s_branch .LBB13_451
.LBB13_445:                             ;   in Loop: Header=BB13_419 Depth=2
	s_andn2_saveexec_b64 s[56:57], s[56:57]
	s_cbranch_execz .LBB13_443
.LBB13_446:                             ;   in Loop: Header=BB13_419 Depth=2
	s_mov_b64 s[62:63], exec
	v_mbcnt_lo_u32_b32 v0, s62, 0
	v_mbcnt_hi_u32_b32 v0, s63, v0
	v_cmp_eq_u32_e32 vcc, 0, v0
                                        ; implicit-def: $vgpr1
	s_and_saveexec_b64 s[60:61], vcc
	s_cbranch_execz .LBB13_448
; %bb.447:                              ;   in Loop: Header=BB13_419 Depth=2
	s_bcnt1_i32_b64 s44, s[62:63]
	v_mov_b32_e32 v1, s44
	global_atomic_add v1, v31, v1, s[26:27] offset:384 glc
.LBB13_448:                             ;   in Loop: Header=BB13_419 Depth=2
	s_or_b64 exec, exec, s[60:61]
	s_waitcnt vmcnt(0)
	v_readfirstlane_b32 s44, v1
	s_andn2_b64 s[58:59], s[58:59], exec
	s_and_b64 s[60:61], s[6:7], exec
	v_add_u32_e32 v0, s44, v0
	s_or_b64 s[54:55], s[54:55], exec
	s_or_b64 s[58:59], s[58:59], s[60:61]
	s_or_b64 exec, exec, s[56:57]
	s_and_saveexec_b64 s[56:57], s[58:59]
	s_cbranch_execnz .LBB13_444
.LBB13_449:                             ;   in Loop: Header=BB13_419 Depth=2
	s_or_b64 exec, exec, s[56:57]
	s_and_saveexec_b64 s[56:57], s[54:55]
	s_cbranch_execz .LBB13_451
.LBB13_450:                             ;   in Loop: Header=BB13_419 Depth=2
	v_ashrrev_i32_e32 v1, 31, v0
	v_lshlrev_b64 v[0:1], 2, v[0:1]
	v_mov_b32_e32 v7, s39
	v_add_co_u32_e32 v0, vcc, s33, v0
	v_addc_co_u32_e32 v1, vcc, v7, v1, vcc
	s_waitcnt vmcnt(0)
	global_store_dword v[0:1], v6, off
.LBB13_451:                             ;   in Loop: Header=BB13_419 Depth=2
	s_or_b64 exec, exec, s[56:57]
	v_cmp_gt_i32_e32 vcc, 0, v2
	v_cndmask_b32_e64 v0, v61, 0, vcc
	v_xor_b32_e32 v1, v0, v2
	s_waitcnt vmcnt(0)
	v_add_u32_e32 v6, 2, v4
	v_cmp_ge_u32_e32 vcc, v1, v42
	s_mov_b64 s[58:59], 0
	s_mov_b64 s[54:55], 0
                                        ; implicit-def: $vgpr0
	s_and_saveexec_b64 s[56:57], vcc
	s_xor_b64 s[56:57], exec, s[56:57]
	s_cbranch_execz .LBB13_461
; %bb.452:                              ;   in Loop: Header=BB13_419 Depth=2
	v_cmp_eq_u32_e32 vcc, v1, v42
	s_mov_b64 s[60:61], 0
                                        ; implicit-def: $vgpr0
	s_and_saveexec_b64 s[54:55], vcc
	s_cbranch_execz .LBB13_458
; %bb.453:                              ;   in Loop: Header=BB13_419 Depth=2
	s_mov_b64 s[60:61], exec
	v_mbcnt_lo_u32_b32 v0, s60, 0
	v_mbcnt_hi_u32_b32 v0, s61, v0
	v_cmp_eq_u32_e32 vcc, 0, v0
                                        ; implicit-def: $vgpr1
	s_and_saveexec_b64 s[58:59], vcc
	s_cbranch_execz .LBB13_455
; %bb.454:                              ;   in Loop: Header=BB13_419 Depth=2
	s_bcnt1_i32_b64 s44, s[60:61]
	v_mov_b32_e32 v1, s44
	global_atomic_add v1, v31, v1, s[26:27] offset:512 glc
.LBB13_455:                             ;   in Loop: Header=BB13_419 Depth=2
	s_or_b64 exec, exec, s[58:59]
	s_waitcnt vmcnt(0)
	v_readfirstlane_b32 s44, v1
	v_add_u32_e32 v1, s44, v0
	v_cmp_lt_i32_e32 vcc, v1, v43
	s_mov_b64 s[58:59], 0
	s_mov_b64 s[60:61], 0
                                        ; implicit-def: $vgpr0
	s_and_saveexec_b64 s[62:63], vcc
; %bb.456:                              ;   in Loop: Header=BB13_419 Depth=2
	v_xad_u32 v0, v1, -1, s38
	s_and_b64 s[60:61], s[46:47], exec
	s_and_b64 s[58:59], s[6:7], exec
; %bb.457:                              ;   in Loop: Header=BB13_419 Depth=2
	s_or_b64 exec, exec, s[62:63]
	s_and_b64 s[60:61], s[60:61], exec
	s_and_b64 s[58:59], s[58:59], exec
.LBB13_458:                             ;   in Loop: Header=BB13_419 Depth=2
	s_or_b64 exec, exec, s[54:55]
	s_and_b64 s[54:55], s[60:61], exec
	s_and_b64 s[58:59], s[58:59], exec
	s_andn2_saveexec_b64 s[56:57], s[56:57]
	s_cbranch_execnz .LBB13_462
.LBB13_459:                             ;   in Loop: Header=BB13_419 Depth=2
	s_or_b64 exec, exec, s[56:57]
	s_and_saveexec_b64 s[56:57], s[58:59]
	s_cbranch_execz .LBB13_465
.LBB13_460:                             ;   in Loop: Header=BB13_419 Depth=2
	v_lshlrev_b64 v[6:7], 2, v[4:5]
	v_mov_b32_e32 v1, s67
	v_add_co_u32_e32 v6, vcc, s66, v6
	v_addc_co_u32_e32 v7, vcc, v1, v7, vcc
	global_load_dword v6, v[6:7], off
	s_or_b64 s[54:55], s[54:55], exec
	s_or_b64 exec, exec, s[56:57]
	s_and_saveexec_b64 s[56:57], s[54:55]
	s_cbranch_execnz .LBB13_466
	s_branch .LBB13_467
.LBB13_461:                             ;   in Loop: Header=BB13_419 Depth=2
	s_andn2_saveexec_b64 s[56:57], s[56:57]
	s_cbranch_execz .LBB13_459
.LBB13_462:                             ;   in Loop: Header=BB13_419 Depth=2
	s_mov_b64 s[62:63], exec
	v_mbcnt_lo_u32_b32 v0, s62, 0
	v_mbcnt_hi_u32_b32 v0, s63, v0
	v_cmp_eq_u32_e32 vcc, 0, v0
                                        ; implicit-def: $vgpr1
	s_and_saveexec_b64 s[60:61], vcc
	s_cbranch_execz .LBB13_464
; %bb.463:                              ;   in Loop: Header=BB13_419 Depth=2
	s_bcnt1_i32_b64 s44, s[62:63]
	v_mov_b32_e32 v1, s44
	global_atomic_add v1, v31, v1, s[26:27] offset:384 glc
.LBB13_464:                             ;   in Loop: Header=BB13_419 Depth=2
	s_or_b64 exec, exec, s[60:61]
	s_waitcnt vmcnt(0)
	v_readfirstlane_b32 s44, v1
	s_andn2_b64 s[58:59], s[58:59], exec
	s_and_b64 s[60:61], s[6:7], exec
	v_add_u32_e32 v0, s44, v0
	s_or_b64 s[54:55], s[54:55], exec
	s_or_b64 s[58:59], s[58:59], s[60:61]
	s_or_b64 exec, exec, s[56:57]
	s_and_saveexec_b64 s[56:57], s[58:59]
	s_cbranch_execnz .LBB13_460
.LBB13_465:                             ;   in Loop: Header=BB13_419 Depth=2
	s_or_b64 exec, exec, s[56:57]
	s_and_saveexec_b64 s[56:57], s[54:55]
	s_cbranch_execz .LBB13_467
.LBB13_466:                             ;   in Loop: Header=BB13_419 Depth=2
	v_ashrrev_i32_e32 v1, 31, v0
	v_lshlrev_b64 v[0:1], 2, v[0:1]
	v_mov_b32_e32 v2, s39
	v_add_co_u32_e32 v0, vcc, s33, v0
	v_addc_co_u32_e32 v1, vcc, v2, v1, vcc
	s_waitcnt vmcnt(0)
	global_store_dword v[0:1], v6, off
.LBB13_467:                             ;   in Loop: Header=BB13_419 Depth=2
	s_or_b64 exec, exec, s[56:57]
	v_cmp_gt_i32_e32 vcc, 0, v3
	v_cndmask_b32_e64 v0, v61, 0, vcc
	v_xor_b32_e32 v1, v0, v3
	v_add_u32_e32 v2, 3, v4
	v_cmp_ge_u32_e32 vcc, v1, v42
	s_mov_b64 s[58:59], 0
	s_mov_b64 s[54:55], 0
                                        ; implicit-def: $vgpr0
	s_and_saveexec_b64 s[56:57], vcc
	s_xor_b64 s[56:57], exec, s[56:57]
	s_cbranch_execz .LBB13_477
; %bb.468:                              ;   in Loop: Header=BB13_419 Depth=2
	v_cmp_eq_u32_e32 vcc, v1, v42
	s_mov_b64 s[60:61], 0
                                        ; implicit-def: $vgpr0
	s_and_saveexec_b64 s[54:55], vcc
	s_cbranch_execz .LBB13_474
; %bb.469:                              ;   in Loop: Header=BB13_419 Depth=2
	s_mov_b64 s[60:61], exec
	v_mbcnt_lo_u32_b32 v0, s60, 0
	v_mbcnt_hi_u32_b32 v0, s61, v0
	v_cmp_eq_u32_e32 vcc, 0, v0
                                        ; implicit-def: $vgpr1
	s_and_saveexec_b64 s[58:59], vcc
	s_cbranch_execz .LBB13_471
; %bb.470:                              ;   in Loop: Header=BB13_419 Depth=2
	s_bcnt1_i32_b64 s44, s[60:61]
	v_mov_b32_e32 v1, s44
	global_atomic_add v1, v31, v1, s[26:27] offset:512 glc
.LBB13_471:                             ;   in Loop: Header=BB13_419 Depth=2
	s_or_b64 exec, exec, s[58:59]
	s_waitcnt vmcnt(0)
	v_readfirstlane_b32 s44, v1
	v_add_u32_e32 v1, s44, v0
	v_cmp_lt_i32_e32 vcc, v1, v43
	s_mov_b64 s[58:59], 0
	s_mov_b64 s[60:61], 0
                                        ; implicit-def: $vgpr0
	s_and_saveexec_b64 s[62:63], vcc
; %bb.472:                              ;   in Loop: Header=BB13_419 Depth=2
	v_xad_u32 v0, v1, -1, s38
	s_and_b64 s[60:61], s[46:47], exec
	s_and_b64 s[58:59], s[6:7], exec
; %bb.473:                              ;   in Loop: Header=BB13_419 Depth=2
	s_or_b64 exec, exec, s[62:63]
	s_and_b64 s[60:61], s[60:61], exec
	s_and_b64 s[58:59], s[58:59], exec
.LBB13_474:                             ;   in Loop: Header=BB13_419 Depth=2
	s_or_b64 exec, exec, s[54:55]
	s_and_b64 s[54:55], s[60:61], exec
	s_and_b64 s[58:59], s[58:59], exec
	s_andn2_saveexec_b64 s[56:57], s[56:57]
	s_cbranch_execnz .LBB13_478
.LBB13_475:                             ;   in Loop: Header=BB13_419 Depth=2
	s_or_b64 exec, exec, s[56:57]
	s_and_saveexec_b64 s[56:57], s[58:59]
	s_cbranch_execz .LBB13_481
.LBB13_476:                             ;   in Loop: Header=BB13_419 Depth=2
	v_lshlrev_b64 v[2:3], 2, v[4:5]
	v_mov_b32_e32 v1, s69
	v_add_co_u32_e32 v2, vcc, s68, v2
	v_addc_co_u32_e32 v3, vcc, v1, v3, vcc
	global_load_dword v2, v[2:3], off
	s_or_b64 s[54:55], s[54:55], exec
	s_or_b64 exec, exec, s[56:57]
	s_and_saveexec_b64 s[56:57], s[54:55]
	s_cbranch_execz .LBB13_418
	s_branch .LBB13_482
.LBB13_477:                             ;   in Loop: Header=BB13_419 Depth=2
	s_andn2_saveexec_b64 s[56:57], s[56:57]
	s_cbranch_execz .LBB13_475
.LBB13_478:                             ;   in Loop: Header=BB13_419 Depth=2
	s_mov_b64 s[62:63], exec
	v_mbcnt_lo_u32_b32 v0, s62, 0
	v_mbcnt_hi_u32_b32 v0, s63, v0
	v_cmp_eq_u32_e32 vcc, 0, v0
                                        ; implicit-def: $vgpr1
	s_and_saveexec_b64 s[60:61], vcc
	s_cbranch_execz .LBB13_480
; %bb.479:                              ;   in Loop: Header=BB13_419 Depth=2
	s_bcnt1_i32_b64 s44, s[62:63]
	v_mov_b32_e32 v1, s44
	global_atomic_add v1, v31, v1, s[26:27] offset:384 glc
.LBB13_480:                             ;   in Loop: Header=BB13_419 Depth=2
	s_or_b64 exec, exec, s[60:61]
	s_waitcnt vmcnt(0)
	v_readfirstlane_b32 s44, v1
	s_andn2_b64 s[58:59], s[58:59], exec
	s_and_b64 s[60:61], s[6:7], exec
	v_add_u32_e32 v0, s44, v0
	s_or_b64 s[54:55], s[54:55], exec
	s_or_b64 s[58:59], s[58:59], s[60:61]
	s_or_b64 exec, exec, s[56:57]
	s_and_saveexec_b64 s[56:57], s[58:59]
	s_cbranch_execnz .LBB13_476
.LBB13_481:                             ;   in Loop: Header=BB13_419 Depth=2
	s_or_b64 exec, exec, s[56:57]
	s_and_saveexec_b64 s[56:57], s[54:55]
	s_cbranch_execz .LBB13_418
.LBB13_482:                             ;   in Loop: Header=BB13_419 Depth=2
	v_ashrrev_i32_e32 v1, 31, v0
	v_lshlrev_b64 v[0:1], 2, v[0:1]
	v_mov_b32_e32 v3, s39
	v_add_co_u32_e32 v0, vcc, s33, v0
	v_addc_co_u32_e32 v1, vcc, v3, v1, vcc
	s_waitcnt vmcnt(0)
	global_store_dword v[0:1], v2, off
	s_branch .LBB13_418
.LBB13_483:                             ;   in Loop: Header=BB13_18 Depth=1
	s_or_b64 exec, exec, s[4:5]
	s_and_saveexec_b64 s[4:5], s[2:3]
	s_cbranch_execz .LBB13_500
; %bb.484:                              ;   in Loop: Header=BB13_18 Depth=1
	global_load_dword v0, v[20:21], off
	s_mov_b64 s[56:57], 0
	s_mov_b64 s[54:55], 0
                                        ; implicit-def: $vgpr2
	s_waitcnt vmcnt(0)
	v_cmp_gt_i32_e32 vcc, 0, v0
	v_cndmask_b32_e64 v1, v61, 0, vcc
	v_xor_b32_e32 v1, v1, v0
	s_waitcnt lgkmcnt(0)
	v_cmp_ge_u32_e32 vcc, v1, v42
                                        ; implicit-def: $vgpr0
	s_and_saveexec_b64 s[52:53], vcc
	s_xor_b64 s[52:53], exec, s[52:53]
	s_cbranch_execz .LBB13_494
; %bb.485:                              ;   in Loop: Header=BB13_18 Depth=1
	v_cmp_eq_u32_e32 vcc, v1, v42
	s_mov_b64 s[58:59], 0
                                        ; implicit-def: $vgpr0
	s_and_saveexec_b64 s[54:55], vcc
	s_cbranch_execz .LBB13_491
; %bb.486:                              ;   in Loop: Header=BB13_18 Depth=1
	s_mov_b64 s[58:59], exec
	v_mbcnt_lo_u32_b32 v0, s58, 0
	v_mbcnt_hi_u32_b32 v0, s59, v0
	v_cmp_eq_u32_e32 vcc, 0, v0
                                        ; implicit-def: $vgpr1
	s_and_saveexec_b64 s[56:57], vcc
	s_cbranch_execz .LBB13_488
; %bb.487:                              ;   in Loop: Header=BB13_18 Depth=1
	s_bcnt1_i32_b64 s44, s[58:59]
	v_mov_b32_e32 v1, s44
	global_atomic_add v1, v31, v1, s[26:27] offset:512 glc
.LBB13_488:                             ;   in Loop: Header=BB13_18 Depth=1
	s_or_b64 exec, exec, s[56:57]
	s_waitcnt vmcnt(0)
	v_readfirstlane_b32 s44, v1
	v_add_u32_e32 v1, s44, v0
	v_cmp_lt_i32_e32 vcc, v1, v43
	s_mov_b64 s[56:57], 0
	s_mov_b64 s[58:59], 0
                                        ; implicit-def: $vgpr0
	s_and_saveexec_b64 s[60:61], vcc
	s_xor_b64 s[60:61], exec, s[60:61]
; %bb.489:                              ;   in Loop: Header=BB13_18 Depth=1
	v_xad_u32 v0, v1, -1, s38
	s_and_b64 s[58:59], s[46:47], exec
	s_and_b64 s[56:57], s[6:7], exec
; %bb.490:                              ;   in Loop: Header=BB13_18 Depth=1
	s_or_b64 exec, exec, s[60:61]
	s_and_b64 s[58:59], s[58:59], exec
	s_and_b64 s[56:57], s[56:57], exec
.LBB13_491:                             ;   in Loop: Header=BB13_18 Depth=1
	s_or_b64 exec, exec, s[54:55]
	s_and_b64 s[54:55], s[58:59], exec
	s_and_b64 s[56:57], s[56:57], exec
	v_mov_b32_e32 v2, v14
	s_andn2_saveexec_b64 s[52:53], s[52:53]
	s_cbranch_execnz .LBB13_495
.LBB13_492:                             ;   in Loop: Header=BB13_18 Depth=1
	s_or_b64 exec, exec, s[52:53]
	s_and_saveexec_b64 s[52:53], s[56:57]
	s_cbranch_execz .LBB13_498
.LBB13_493:                             ;   in Loop: Header=BB13_18 Depth=1
	global_load_dword v2, v[22:23], off
	s_or_b64 s[54:55], s[54:55], exec
	s_or_b64 exec, exec, s[52:53]
	s_and_b64 exec, exec, s[54:55]
	s_cbranch_execnz .LBB13_499
	s_branch .LBB13_500
.LBB13_494:                             ;   in Loop: Header=BB13_18 Depth=1
	s_andn2_saveexec_b64 s[52:53], s[52:53]
	s_cbranch_execz .LBB13_492
.LBB13_495:                             ;   in Loop: Header=BB13_18 Depth=1
	s_mov_b64 s[60:61], exec
	v_mbcnt_lo_u32_b32 v0, s60, 0
	v_mbcnt_hi_u32_b32 v0, s61, v0
	v_cmp_eq_u32_e32 vcc, 0, v0
                                        ; implicit-def: $vgpr1
	s_and_saveexec_b64 s[58:59], vcc
	s_cbranch_execz .LBB13_497
; %bb.496:                              ;   in Loop: Header=BB13_18 Depth=1
	s_bcnt1_i32_b64 s44, s[60:61]
	v_mov_b32_e32 v1, s44
	global_atomic_add v1, v31, v1, s[26:27] offset:384 glc
.LBB13_497:                             ;   in Loop: Header=BB13_18 Depth=1
	s_or_b64 exec, exec, s[58:59]
	s_andn2_b64 s[54:55], s[54:55], exec
	s_and_b64 s[58:59], s[46:47], exec
	s_waitcnt vmcnt(0)
	v_readfirstlane_b32 s44, v1
	s_or_b64 s[54:55], s[54:55], s[58:59]
	s_andn2_b64 s[56:57], s[56:57], exec
	s_and_b64 s[58:59], s[6:7], exec
	v_add_u32_e32 v0, s44, v0
	s_or_b64 s[56:57], s[56:57], s[58:59]
	v_mov_b32_e32 v2, v14
	s_or_b64 exec, exec, s[52:53]
	s_and_saveexec_b64 s[52:53], s[56:57]
	s_cbranch_execnz .LBB13_493
.LBB13_498:                             ;   in Loop: Header=BB13_18 Depth=1
	s_or_b64 exec, exec, s[52:53]
	s_and_b64 exec, exec, s[54:55]
	s_cbranch_execz .LBB13_500
.LBB13_499:                             ;   in Loop: Header=BB13_18 Depth=1
	v_ashrrev_i32_e32 v1, 31, v0
	v_lshlrev_b64 v[0:1], 2, v[0:1]
	v_mov_b32_e32 v3, s39
	v_add_co_u32_e32 v0, vcc, s33, v0
	v_addc_co_u32_e32 v1, vcc, v3, v1, vcc
	s_waitcnt vmcnt(0)
	global_store_dword v[0:1], v2, off
.LBB13_500:                             ;   in Loop: Header=BB13_18 Depth=1
	s_or_b64 exec, exec, s[4:5]
	s_and_saveexec_b64 s[4:5], s[0:1]
	s_cbranch_execz .LBB13_517
; %bb.501:                              ;   in Loop: Header=BB13_18 Depth=1
	global_load_dword v0, v[16:17], off
	s_mov_b64 s[56:57], 0
	s_mov_b64 s[54:55], 0
                                        ; implicit-def: $vgpr2
	s_waitcnt vmcnt(0)
	v_cmp_gt_i32_e32 vcc, 0, v0
	v_cndmask_b32_e64 v1, v61, 0, vcc
	v_xor_b32_e32 v1, v1, v0
	s_waitcnt lgkmcnt(0)
	v_cmp_ge_u32_e32 vcc, v1, v42
                                        ; implicit-def: $vgpr0
	s_and_saveexec_b64 s[52:53], vcc
	s_xor_b64 s[52:53], exec, s[52:53]
	s_cbranch_execz .LBB13_511
; %bb.502:                              ;   in Loop: Header=BB13_18 Depth=1
	v_cmp_eq_u32_e32 vcc, v1, v42
	s_mov_b64 s[58:59], 0
                                        ; implicit-def: $vgpr0
	s_and_saveexec_b64 s[54:55], vcc
	s_cbranch_execz .LBB13_508
; %bb.503:                              ;   in Loop: Header=BB13_18 Depth=1
	s_mov_b64 s[58:59], exec
	v_mbcnt_lo_u32_b32 v0, s58, 0
	v_mbcnt_hi_u32_b32 v0, s59, v0
	v_cmp_eq_u32_e32 vcc, 0, v0
                                        ; implicit-def: $vgpr1
	s_and_saveexec_b64 s[56:57], vcc
	s_cbranch_execz .LBB13_505
; %bb.504:                              ;   in Loop: Header=BB13_18 Depth=1
	s_bcnt1_i32_b64 s44, s[58:59]
	v_mov_b32_e32 v1, s44
	global_atomic_add v1, v31, v1, s[26:27] offset:512 glc
.LBB13_505:                             ;   in Loop: Header=BB13_18 Depth=1
	s_or_b64 exec, exec, s[56:57]
	s_waitcnt vmcnt(0)
	v_readfirstlane_b32 s44, v1
	v_add_u32_e32 v1, s44, v0
	v_cmp_lt_i32_e32 vcc, v1, v43
	s_mov_b64 s[56:57], 0
	s_mov_b64 s[58:59], 0
                                        ; implicit-def: $vgpr0
	s_and_saveexec_b64 s[60:61], vcc
	s_xor_b64 s[60:61], exec, s[60:61]
; %bb.506:                              ;   in Loop: Header=BB13_18 Depth=1
	v_xad_u32 v0, v1, -1, s38
	s_and_b64 s[58:59], s[46:47], exec
	s_and_b64 s[56:57], s[6:7], exec
; %bb.507:                              ;   in Loop: Header=BB13_18 Depth=1
	s_or_b64 exec, exec, s[60:61]
	s_and_b64 s[58:59], s[58:59], exec
	s_and_b64 s[56:57], s[56:57], exec
.LBB13_508:                             ;   in Loop: Header=BB13_18 Depth=1
	s_or_b64 exec, exec, s[54:55]
	s_and_b64 s[54:55], s[58:59], exec
	s_and_b64 s[56:57], s[56:57], exec
	v_mov_b32_e32 v2, v12
	s_andn2_saveexec_b64 s[52:53], s[52:53]
	s_cbranch_execnz .LBB13_512
.LBB13_509:                             ;   in Loop: Header=BB13_18 Depth=1
	s_or_b64 exec, exec, s[52:53]
	s_and_saveexec_b64 s[52:53], s[56:57]
	s_cbranch_execz .LBB13_515
.LBB13_510:                             ;   in Loop: Header=BB13_18 Depth=1
	global_load_dword v2, v[18:19], off
	s_or_b64 s[54:55], s[54:55], exec
	s_or_b64 exec, exec, s[52:53]
	s_and_b64 exec, exec, s[54:55]
	s_cbranch_execnz .LBB13_516
	s_branch .LBB13_517
.LBB13_511:                             ;   in Loop: Header=BB13_18 Depth=1
	s_andn2_saveexec_b64 s[52:53], s[52:53]
	s_cbranch_execz .LBB13_509
.LBB13_512:                             ;   in Loop: Header=BB13_18 Depth=1
	s_mov_b64 s[60:61], exec
	v_mbcnt_lo_u32_b32 v0, s60, 0
	v_mbcnt_hi_u32_b32 v0, s61, v0
	v_cmp_eq_u32_e32 vcc, 0, v0
                                        ; implicit-def: $vgpr1
	s_and_saveexec_b64 s[58:59], vcc
	s_cbranch_execz .LBB13_514
; %bb.513:                              ;   in Loop: Header=BB13_18 Depth=1
	s_bcnt1_i32_b64 s44, s[60:61]
	v_mov_b32_e32 v1, s44
	global_atomic_add v1, v31, v1, s[26:27] offset:384 glc
.LBB13_514:                             ;   in Loop: Header=BB13_18 Depth=1
	s_or_b64 exec, exec, s[58:59]
	s_andn2_b64 s[54:55], s[54:55], exec
	s_and_b64 s[58:59], s[46:47], exec
	s_waitcnt vmcnt(0)
	v_readfirstlane_b32 s44, v1
	s_or_b64 s[54:55], s[54:55], s[58:59]
	s_andn2_b64 s[56:57], s[56:57], exec
	s_and_b64 s[58:59], s[6:7], exec
	v_add_u32_e32 v0, s44, v0
	s_or_b64 s[56:57], s[56:57], s[58:59]
	v_mov_b32_e32 v2, v12
	s_or_b64 exec, exec, s[52:53]
	s_and_saveexec_b64 s[52:53], s[56:57]
	s_cbranch_execnz .LBB13_510
.LBB13_515:                             ;   in Loop: Header=BB13_18 Depth=1
	s_or_b64 exec, exec, s[52:53]
	s_and_b64 exec, exec, s[54:55]
	s_cbranch_execz .LBB13_517
.LBB13_516:                             ;   in Loop: Header=BB13_18 Depth=1
	v_ashrrev_i32_e32 v1, 31, v0
	v_lshlrev_b64 v[0:1], 2, v[0:1]
	v_mov_b32_e32 v3, s39
	v_add_co_u32_e32 v0, vcc, s33, v0
	v_addc_co_u32_e32 v1, vcc, v3, v1, vcc
	s_waitcnt vmcnt(0)
	global_store_dword v[0:1], v2, off
.LBB13_517:                             ;   in Loop: Header=BB13_18 Depth=1
	s_or_b64 exec, exec, s[4:5]
.LBB13_518:                             ;   in Loop: Header=BB13_18 Depth=1
	s_add_i32 s92, s92, 1
	s_add_u32 s50, s50, 0x2000
	s_addc_u32 s51, s51, 0
	v_add_co_u32_e32 v40, vcc, 0x2000, v40
	s_cmp_eq_u32 s92, 3
	v_addc_co_u32_e32 v41, vcc, 0, v41, vcc
	s_mov_b64 s[4:5], -1
	s_cselect_b64 s[52:53], -1, 0
	s_branch .LBB13_17
.LBB13_519:
	s_andn2_b64 vcc, exec, s[4:5]
	s_cbranch_vccz .LBB13_677
; %bb.520:
	v_mov_b32_e32 v15, 0
	ds_read_b32 v13, v15 offset:16896
	s_add_i32 s18, s93, 32
	v_mov_b32_e32 v4, v14
	s_and_saveexec_b64 s[10:11], s[8:9]
	s_cbranch_execz .LBB13_633
; %bb.521:
	v_cndmask_b32_e64 v0, 0, 1, s[6:7]
	s_lshl_b32 s19, -1, s18
	s_mov_b64 s[8:9], 0
	v_mov_b32_e32 v30, s70
	v_mov_b32_e32 v31, s37
	v_bfrev_b32_e32 v32, -2
	v_cmp_ne_u32_e64 s[4:5], 1, v0
	s_branch .LBB13_525
.LBB13_522:                             ;   in Loop: Header=BB13_525 Depth=1
	v_ashrrev_i32_e32 v5, 31, v4
	v_lshlrev_b64 v[2:3], 2, v[4:5]
	v_mov_b32_e32 v1, s69
	v_add_co_u32_e32 v2, vcc, s68, v2
	v_addc_co_u32_e32 v3, vcc, v1, v3, vcc
	global_load_dword v1, v[2:3], off
.LBB13_523:                             ;   in Loop: Header=BB13_525 Depth=1
	v_add_u32_e32 v2, s14, v0
	v_ashrrev_i32_e32 v3, 31, v2
	v_lshlrev_b64 v[2:3], 2, v[2:3]
	v_mov_b32_e32 v0, s39
	v_add_co_u32_e32 v2, vcc, s33, v2
	v_addc_co_u32_e32 v3, vcc, v0, v3, vcc
	s_waitcnt vmcnt(0)
	global_store_dword v[2:3], v1, off
.LBB13_524:                             ;   in Loop: Header=BB13_525 Depth=1
	s_or_b64 exec, exec, s[12:13]
	v_add_u32_e32 v24, s65, v24
	v_ashrrev_i32_e32 v25, 31, v24
	v_mov_b32_e32 v0, s71
	v_add_co_u32_e32 v26, vcc, s72, v24
	v_addc_co_u32_e32 v27, vcc, v0, v25, vcc
	v_cmp_le_u64_e32 vcc, s[30:31], v[26:27]
	s_or_b64 s[8:9], vcc, s[8:9]
	s_andn2_b64 exec, exec, s[8:9]
	s_cbranch_execz .LBB13_632
.LBB13_525:                             ; =>This Inner Loop Header: Depth=1
	v_lshlrev_b64 v[0:1], 4, v[24:25]
	v_add_co_u32_e32 v4, vcc, s64, v0
	v_addc_co_u32_e32 v5, vcc, v30, v1, vcc
	global_load_dwordx4 v[0:3], v[4:5], off
	v_add_co_u32_e32 v8, vcc, s36, v4
	v_addc_co_u32_e32 v9, vcc, v5, v31, vcc
	global_load_dwordx4 v[4:7], v[8:9], off
	v_lshl_add_u32 v10, v24, 2, s34
	s_waitcnt vmcnt(1)
	v_cmp_gt_i32_e32 vcc, 0, v0
	v_cndmask_b32_e64 v11, v32, 0, vcc
	v_xor_b32_e32 v0, v11, v0
	v_and_b32_e32 v0, s19, v0
	s_waitcnt lgkmcnt(0)
	v_cmp_le_u32_e32 vcc, v0, v13
	s_and_saveexec_b64 s[12:13], vcc
	s_cbranch_execz .LBB13_531
; %bb.526:                              ;   in Loop: Header=BB13_525 Depth=1
	s_mov_b64 s[16:17], exec
	v_mbcnt_lo_u32_b32 v0, s16, 0
	v_mbcnt_hi_u32_b32 v0, s17, v0
	v_cmp_eq_u32_e32 vcc, 0, v0
                                        ; implicit-def: $vgpr11
	s_and_saveexec_b64 s[14:15], vcc
	s_cbranch_execz .LBB13_528
; %bb.527:                              ;   in Loop: Header=BB13_525 Depth=1
	s_bcnt1_i32_b64 s16, s[16:17]
	v_mov_b32_e32 v11, s16
	global_atomic_add v11, v15, v11, s[26:27] offset:384 glc
.LBB13_528:                             ;   in Loop: Header=BB13_525 Depth=1
	s_or_b64 exec, exec, s[14:15]
	s_waitcnt vmcnt(0)
	v_readfirstlane_b32 s14, v11
	s_and_b64 vcc, exec, s[4:5]
	v_mov_b32_e32 v11, v10
	s_cbranch_vccnz .LBB13_530
; %bb.529:                              ;   in Loop: Header=BB13_525 Depth=1
	v_ashrrev_i32_e32 v11, 31, v10
	v_lshlrev_b64 v[28:29], 2, v[10:11]
	v_mov_b32_e32 v11, s25
	v_add_co_u32_e32 v28, vcc, s24, v28
	v_addc_co_u32_e32 v29, vcc, v11, v29, vcc
	global_load_dword v11, v[28:29], off
.LBB13_530:                             ;   in Loop: Header=BB13_525 Depth=1
	v_add_u32_e32 v28, s14, v0
	v_ashrrev_i32_e32 v29, 31, v28
	v_lshlrev_b64 v[28:29], 2, v[28:29]
	v_mov_b32_e32 v0, s39
	v_add_co_u32_e32 v28, vcc, s33, v28
	v_addc_co_u32_e32 v29, vcc, v0, v29, vcc
	s_waitcnt vmcnt(0)
	global_store_dword v[28:29], v11, off
.LBB13_531:                             ;   in Loop: Header=BB13_525 Depth=1
	s_or_b64 exec, exec, s[12:13]
	v_cmp_gt_i32_e32 vcc, 0, v1
	v_cndmask_b32_e64 v0, v32, 0, vcc
	v_xor_b32_e32 v0, v0, v1
	v_and_b32_e32 v0, s19, v0
	v_cmp_le_u32_e32 vcc, v0, v13
	s_and_saveexec_b64 s[12:13], vcc
	s_cbranch_execz .LBB13_538
; %bb.532:                              ;   in Loop: Header=BB13_525 Depth=1
	s_mov_b64 s[16:17], exec
	v_mbcnt_lo_u32_b32 v0, s16, 0
	v_mbcnt_hi_u32_b32 v0, s17, v0
	v_cmp_eq_u32_e32 vcc, 0, v0
                                        ; implicit-def: $vgpr1
	s_and_saveexec_b64 s[14:15], vcc
	s_cbranch_execz .LBB13_534
; %bb.533:                              ;   in Loop: Header=BB13_525 Depth=1
	s_bcnt1_i32_b64 s16, s[16:17]
	v_mov_b32_e32 v1, s16
	global_atomic_add v1, v15, v1, s[26:27] offset:384 glc
.LBB13_534:                             ;   in Loop: Header=BB13_525 Depth=1
	s_or_b64 exec, exec, s[14:15]
	s_and_b64 vcc, exec, s[4:5]
	s_waitcnt vmcnt(0)
	v_readfirstlane_b32 s14, v1
	s_cbranch_vccnz .LBB13_536
; %bb.535:                              ;   in Loop: Header=BB13_525 Depth=1
	v_ashrrev_i32_e32 v11, 31, v10
	v_lshlrev_b64 v[28:29], 2, v[10:11]
	v_mov_b32_e32 v1, s35
	v_add_co_u32_e32 v28, vcc, s29, v28
	v_addc_co_u32_e32 v29, vcc, v1, v29, vcc
	global_load_dword v1, v[28:29], off
	s_branch .LBB13_537
.LBB13_536:                             ;   in Loop: Header=BB13_525 Depth=1
	v_add_u32_e32 v1, 1, v10
.LBB13_537:                             ;   in Loop: Header=BB13_525 Depth=1
	v_add_u32_e32 v28, s14, v0
	v_ashrrev_i32_e32 v29, 31, v28
	v_lshlrev_b64 v[28:29], 2, v[28:29]
	v_mov_b32_e32 v0, s39
	v_add_co_u32_e32 v28, vcc, s33, v28
	v_addc_co_u32_e32 v29, vcc, v0, v29, vcc
	s_waitcnt vmcnt(0)
	global_store_dword v[28:29], v1, off
.LBB13_538:                             ;   in Loop: Header=BB13_525 Depth=1
	s_or_b64 exec, exec, s[12:13]
	v_cmp_gt_i32_e32 vcc, 0, v2
	v_cndmask_b32_e64 v0, v32, 0, vcc
	v_xor_b32_e32 v0, v0, v2
	v_and_b32_e32 v0, s19, v0
	v_cmp_le_u32_e32 vcc, v0, v13
	s_and_saveexec_b64 s[12:13], vcc
	s_cbranch_execz .LBB13_545
; %bb.539:                              ;   in Loop: Header=BB13_525 Depth=1
	s_mov_b64 s[16:17], exec
	v_mbcnt_lo_u32_b32 v0, s16, 0
	v_mbcnt_hi_u32_b32 v0, s17, v0
	v_cmp_eq_u32_e32 vcc, 0, v0
                                        ; implicit-def: $vgpr1
	s_and_saveexec_b64 s[14:15], vcc
	s_cbranch_execz .LBB13_541
; %bb.540:                              ;   in Loop: Header=BB13_525 Depth=1
	s_bcnt1_i32_b64 s16, s[16:17]
	v_mov_b32_e32 v1, s16
	global_atomic_add v1, v15, v1, s[26:27] offset:384 glc
.LBB13_541:                             ;   in Loop: Header=BB13_525 Depth=1
	s_or_b64 exec, exec, s[14:15]
	s_and_b64 vcc, exec, s[4:5]
	s_waitcnt vmcnt(0)
	v_readfirstlane_b32 s14, v1
	s_cbranch_vccnz .LBB13_543
; %bb.542:                              ;   in Loop: Header=BB13_525 Depth=1
	v_ashrrev_i32_e32 v11, 31, v10
	v_lshlrev_b64 v[28:29], 2, v[10:11]
	v_mov_b32_e32 v1, s67
	v_add_co_u32_e32 v28, vcc, s66, v28
	v_addc_co_u32_e32 v29, vcc, v1, v29, vcc
	global_load_dword v1, v[28:29], off
	s_branch .LBB13_544
.LBB13_543:                             ;   in Loop: Header=BB13_525 Depth=1
	v_add_u32_e32 v1, 2, v10
.LBB13_544:                             ;   in Loop: Header=BB13_525 Depth=1
	v_add_u32_e32 v28, s14, v0
	v_ashrrev_i32_e32 v29, 31, v28
	v_lshlrev_b64 v[28:29], 2, v[28:29]
	v_mov_b32_e32 v0, s39
	v_add_co_u32_e32 v28, vcc, s33, v28
	v_addc_co_u32_e32 v29, vcc, v0, v29, vcc
	s_waitcnt vmcnt(0)
	global_store_dword v[28:29], v1, off
.LBB13_545:                             ;   in Loop: Header=BB13_525 Depth=1
	s_or_b64 exec, exec, s[12:13]
	v_cmp_gt_i32_e32 vcc, 0, v3
	v_cndmask_b32_e64 v0, v32, 0, vcc
	v_xor_b32_e32 v0, v0, v3
	v_and_b32_e32 v0, s19, v0
	v_cmp_le_u32_e32 vcc, v0, v13
	s_and_saveexec_b64 s[12:13], vcc
	s_cbranch_execz .LBB13_552
; %bb.546:                              ;   in Loop: Header=BB13_525 Depth=1
	s_mov_b64 s[16:17], exec
	v_mbcnt_lo_u32_b32 v0, s16, 0
	v_mbcnt_hi_u32_b32 v0, s17, v0
	v_cmp_eq_u32_e32 vcc, 0, v0
                                        ; implicit-def: $vgpr1
	s_and_saveexec_b64 s[14:15], vcc
	s_cbranch_execz .LBB13_548
; %bb.547:                              ;   in Loop: Header=BB13_525 Depth=1
	s_bcnt1_i32_b64 s16, s[16:17]
	v_mov_b32_e32 v1, s16
	global_atomic_add v1, v15, v1, s[26:27] offset:384 glc
.LBB13_548:                             ;   in Loop: Header=BB13_525 Depth=1
	s_or_b64 exec, exec, s[14:15]
	s_and_b64 vcc, exec, s[4:5]
	s_waitcnt vmcnt(0)
	v_readfirstlane_b32 s14, v1
	s_cbranch_vccnz .LBB13_550
; %bb.549:                              ;   in Loop: Header=BB13_525 Depth=1
	v_ashrrev_i32_e32 v11, 31, v10
	v_lshlrev_b64 v[2:3], 2, v[10:11]
	v_mov_b32_e32 v1, s69
	v_add_co_u32_e32 v2, vcc, s68, v2
	v_addc_co_u32_e32 v3, vcc, v1, v3, vcc
	global_load_dword v1, v[2:3], off
	s_branch .LBB13_551
.LBB13_550:                             ;   in Loop: Header=BB13_525 Depth=1
	v_add_u32_e32 v1, 3, v10
.LBB13_551:                             ;   in Loop: Header=BB13_525 Depth=1
	v_add_u32_e32 v2, s14, v0
	v_ashrrev_i32_e32 v3, 31, v2
	v_lshlrev_b64 v[2:3], 2, v[2:3]
	v_mov_b32_e32 v0, s39
	v_add_co_u32_e32 v2, vcc, s33, v2
	v_addc_co_u32_e32 v3, vcc, v0, v3, vcc
	s_waitcnt vmcnt(0)
	global_store_dword v[2:3], v1, off
.LBB13_552:                             ;   in Loop: Header=BB13_525 Depth=1
	s_or_b64 exec, exec, s[12:13]
	v_mov_b32_e32 v0, s37
	v_add_co_u32_e32 v28, vcc, s36, v8
	v_addc_co_u32_e32 v29, vcc, v9, v0, vcc
	v_lshlrev_b64 v[0:1], 4, v[26:27]
	v_mov_b32_e32 v2, s70
	v_add_co_u32_e32 v34, vcc, s64, v0
	v_addc_co_u32_e32 v35, vcc, v2, v1, vcc
	global_load_dwordx4 v[8:11], v[28:29], off
	global_load_dwordx4 v[0:3], v[34:35], off
	v_add_co_u32_e32 v25, vcc, s28, v24
	s_waitcnt vmcnt(2)
	v_cmp_gt_i32_e32 vcc, 0, v4
	v_cndmask_b32_e64 v27, v32, 0, vcc
	v_xor_b32_e32 v4, v27, v4
	v_and_b32_e32 v4, s19, v4
	v_lshl_add_u32 v28, v25, 2, s34
	v_cmp_le_u32_e32 vcc, v4, v13
	s_and_saveexec_b64 s[12:13], vcc
	s_cbranch_execz .LBB13_558
; %bb.553:                              ;   in Loop: Header=BB13_525 Depth=1
	s_mov_b64 s[16:17], exec
	v_mbcnt_lo_u32_b32 v4, s16, 0
	v_mbcnt_hi_u32_b32 v4, s17, v4
	v_cmp_eq_u32_e32 vcc, 0, v4
                                        ; implicit-def: $vgpr27
	s_and_saveexec_b64 s[14:15], vcc
	s_cbranch_execz .LBB13_555
; %bb.554:                              ;   in Loop: Header=BB13_525 Depth=1
	s_bcnt1_i32_b64 s16, s[16:17]
	v_mov_b32_e32 v27, s16
	global_atomic_add v27, v15, v27, s[26:27] offset:384 glc
.LBB13_555:                             ;   in Loop: Header=BB13_525 Depth=1
	s_or_b64 exec, exec, s[14:15]
	s_waitcnt vmcnt(0)
	v_readfirstlane_b32 s14, v27
	s_and_b64 vcc, exec, s[4:5]
	v_mov_b32_e32 v27, v28
	s_cbranch_vccnz .LBB13_557
; %bb.556:                              ;   in Loop: Header=BB13_525 Depth=1
	v_ashrrev_i32_e32 v29, 31, v28
	v_lshlrev_b64 v[34:35], 2, v[28:29]
	v_mov_b32_e32 v27, s25
	v_add_co_u32_e32 v34, vcc, s24, v34
	v_addc_co_u32_e32 v35, vcc, v27, v35, vcc
	global_load_dword v27, v[34:35], off
.LBB13_557:                             ;   in Loop: Header=BB13_525 Depth=1
	v_add_u32_e32 v34, s14, v4
	v_ashrrev_i32_e32 v35, 31, v34
	v_lshlrev_b64 v[34:35], 2, v[34:35]
	v_mov_b32_e32 v4, s39
	v_add_co_u32_e32 v34, vcc, s33, v34
	v_addc_co_u32_e32 v35, vcc, v4, v35, vcc
	s_waitcnt vmcnt(0)
	global_store_dword v[34:35], v27, off
.LBB13_558:                             ;   in Loop: Header=BB13_525 Depth=1
	s_or_b64 exec, exec, s[12:13]
	v_cmp_gt_i32_e32 vcc, 0, v5
	v_cndmask_b32_e64 v4, v32, 0, vcc
	v_xor_b32_e32 v4, v4, v5
	v_and_b32_e32 v4, s19, v4
	v_cmp_le_u32_e32 vcc, v4, v13
	s_and_saveexec_b64 s[12:13], vcc
	s_cbranch_execz .LBB13_565
; %bb.559:                              ;   in Loop: Header=BB13_525 Depth=1
	s_mov_b64 s[16:17], exec
	v_mbcnt_lo_u32_b32 v4, s16, 0
	v_mbcnt_hi_u32_b32 v4, s17, v4
	v_cmp_eq_u32_e32 vcc, 0, v4
                                        ; implicit-def: $vgpr5
	s_and_saveexec_b64 s[14:15], vcc
	s_cbranch_execz .LBB13_561
; %bb.560:                              ;   in Loop: Header=BB13_525 Depth=1
	s_bcnt1_i32_b64 s16, s[16:17]
	v_mov_b32_e32 v5, s16
	global_atomic_add v5, v15, v5, s[26:27] offset:384 glc
.LBB13_561:                             ;   in Loop: Header=BB13_525 Depth=1
	s_or_b64 exec, exec, s[14:15]
	s_and_b64 vcc, exec, s[4:5]
	s_waitcnt vmcnt(0)
	v_readfirstlane_b32 s14, v5
	s_cbranch_vccnz .LBB13_563
; %bb.562:                              ;   in Loop: Header=BB13_525 Depth=1
	v_ashrrev_i32_e32 v29, 31, v28
	v_lshlrev_b64 v[34:35], 2, v[28:29]
	v_mov_b32_e32 v5, s35
	v_add_co_u32_e32 v34, vcc, s29, v34
	v_addc_co_u32_e32 v35, vcc, v5, v35, vcc
	global_load_dword v5, v[34:35], off
	s_branch .LBB13_564
.LBB13_563:                             ;   in Loop: Header=BB13_525 Depth=1
	v_add_u32_e32 v5, 1, v28
.LBB13_564:                             ;   in Loop: Header=BB13_525 Depth=1
	v_add_u32_e32 v34, s14, v4
	v_ashrrev_i32_e32 v35, 31, v34
	v_lshlrev_b64 v[34:35], 2, v[34:35]
	v_mov_b32_e32 v4, s39
	v_add_co_u32_e32 v34, vcc, s33, v34
	v_addc_co_u32_e32 v35, vcc, v4, v35, vcc
	s_waitcnt vmcnt(0)
	global_store_dword v[34:35], v5, off
.LBB13_565:                             ;   in Loop: Header=BB13_525 Depth=1
	s_or_b64 exec, exec, s[12:13]
	v_cmp_gt_i32_e32 vcc, 0, v6
	v_cndmask_b32_e64 v4, v32, 0, vcc
	v_xor_b32_e32 v4, v4, v6
	v_and_b32_e32 v4, s19, v4
	v_cmp_le_u32_e32 vcc, v4, v13
	s_and_saveexec_b64 s[12:13], vcc
	s_cbranch_execz .LBB13_572
; %bb.566:                              ;   in Loop: Header=BB13_525 Depth=1
	s_mov_b64 s[16:17], exec
	v_mbcnt_lo_u32_b32 v4, s16, 0
	v_mbcnt_hi_u32_b32 v4, s17, v4
	v_cmp_eq_u32_e32 vcc, 0, v4
                                        ; implicit-def: $vgpr5
	s_and_saveexec_b64 s[14:15], vcc
	s_cbranch_execz .LBB13_568
; %bb.567:                              ;   in Loop: Header=BB13_525 Depth=1
	s_bcnt1_i32_b64 s16, s[16:17]
	v_mov_b32_e32 v5, s16
	global_atomic_add v5, v15, v5, s[26:27] offset:384 glc
.LBB13_568:                             ;   in Loop: Header=BB13_525 Depth=1
	s_or_b64 exec, exec, s[14:15]
	s_and_b64 vcc, exec, s[4:5]
	s_waitcnt vmcnt(0)
	v_readfirstlane_b32 s14, v5
	s_cbranch_vccnz .LBB13_570
; %bb.569:                              ;   in Loop: Header=BB13_525 Depth=1
	v_ashrrev_i32_e32 v29, 31, v28
	v_lshlrev_b64 v[34:35], 2, v[28:29]
	v_mov_b32_e32 v5, s67
	v_add_co_u32_e32 v34, vcc, s66, v34
	v_addc_co_u32_e32 v35, vcc, v5, v35, vcc
	global_load_dword v5, v[34:35], off
	s_branch .LBB13_571
.LBB13_570:                             ;   in Loop: Header=BB13_525 Depth=1
	v_add_u32_e32 v5, 2, v28
.LBB13_571:                             ;   in Loop: Header=BB13_525 Depth=1
	v_add_u32_e32 v34, s14, v4
	v_ashrrev_i32_e32 v35, 31, v34
	v_lshlrev_b64 v[34:35], 2, v[34:35]
	v_mov_b32_e32 v4, s39
	v_add_co_u32_e32 v34, vcc, s33, v34
	v_addc_co_u32_e32 v35, vcc, v4, v35, vcc
	s_waitcnt vmcnt(0)
	global_store_dword v[34:35], v5, off
.LBB13_572:                             ;   in Loop: Header=BB13_525 Depth=1
	s_or_b64 exec, exec, s[12:13]
	v_cmp_gt_i32_e32 vcc, 0, v7
	v_cndmask_b32_e64 v4, v32, 0, vcc
	v_xor_b32_e32 v4, v4, v7
	v_and_b32_e32 v4, s19, v4
	v_cmp_le_u32_e32 vcc, v4, v13
	s_and_saveexec_b64 s[12:13], vcc
	s_cbranch_execz .LBB13_579
; %bb.573:                              ;   in Loop: Header=BB13_525 Depth=1
	s_mov_b64 s[16:17], exec
	v_mbcnt_lo_u32_b32 v4, s16, 0
	v_mbcnt_hi_u32_b32 v4, s17, v4
	v_cmp_eq_u32_e32 vcc, 0, v4
                                        ; implicit-def: $vgpr5
	s_and_saveexec_b64 s[14:15], vcc
	s_cbranch_execz .LBB13_575
; %bb.574:                              ;   in Loop: Header=BB13_525 Depth=1
	s_bcnt1_i32_b64 s16, s[16:17]
	v_mov_b32_e32 v5, s16
	global_atomic_add v5, v15, v5, s[26:27] offset:384 glc
.LBB13_575:                             ;   in Loop: Header=BB13_525 Depth=1
	s_or_b64 exec, exec, s[14:15]
	s_and_b64 vcc, exec, s[4:5]
	s_waitcnt vmcnt(0)
	v_readfirstlane_b32 s14, v5
	s_cbranch_vccnz .LBB13_577
; %bb.576:                              ;   in Loop: Header=BB13_525 Depth=1
	v_ashrrev_i32_e32 v29, 31, v28
	v_lshlrev_b64 v[6:7], 2, v[28:29]
	v_mov_b32_e32 v5, s69
	v_add_co_u32_e32 v6, vcc, s68, v6
	v_addc_co_u32_e32 v7, vcc, v5, v7, vcc
	global_load_dword v5, v[6:7], off
	s_branch .LBB13_578
.LBB13_577:                             ;   in Loop: Header=BB13_525 Depth=1
	v_add_u32_e32 v5, 3, v28
.LBB13_578:                             ;   in Loop: Header=BB13_525 Depth=1
	v_add_u32_e32 v6, s14, v4
	v_ashrrev_i32_e32 v7, 31, v6
	v_lshlrev_b64 v[6:7], 2, v[6:7]
	v_mov_b32_e32 v4, s39
	v_add_co_u32_e32 v6, vcc, s33, v6
	v_addc_co_u32_e32 v7, vcc, v4, v7, vcc
	s_waitcnt vmcnt(0)
	global_store_dword v[6:7], v5, off
.LBB13_579:                             ;   in Loop: Header=BB13_525 Depth=1
	s_or_b64 exec, exec, s[12:13]
	s_waitcnt vmcnt(1)
	v_cmp_gt_i32_e32 vcc, 0, v8
	v_cndmask_b32_e64 v5, v32, 0, vcc
	v_xor_b32_e32 v5, v5, v8
	v_add_u32_e32 v4, s28, v25
	v_and_b32_e32 v5, s19, v5
	v_lshl_add_u32 v4, v4, 2, s34
	v_cmp_le_u32_e32 vcc, v5, v13
	s_and_saveexec_b64 s[12:13], vcc
	s_cbranch_execz .LBB13_585
; %bb.580:                              ;   in Loop: Header=BB13_525 Depth=1
	s_mov_b64 s[16:17], exec
	v_mbcnt_lo_u32_b32 v5, s16, 0
	v_mbcnt_hi_u32_b32 v6, s17, v5
	v_cmp_eq_u32_e32 vcc, 0, v6
                                        ; implicit-def: $vgpr5
	s_and_saveexec_b64 s[14:15], vcc
	s_cbranch_execz .LBB13_582
; %bb.581:                              ;   in Loop: Header=BB13_525 Depth=1
	s_bcnt1_i32_b64 s16, s[16:17]
	v_mov_b32_e32 v5, s16
	global_atomic_add v5, v15, v5, s[26:27] offset:384 glc
.LBB13_582:                             ;   in Loop: Header=BB13_525 Depth=1
	s_or_b64 exec, exec, s[14:15]
	s_waitcnt vmcnt(0)
	v_readfirstlane_b32 s14, v5
	s_and_b64 vcc, exec, s[4:5]
	v_mov_b32_e32 v5, v4
	s_cbranch_vccnz .LBB13_584
; %bb.583:                              ;   in Loop: Header=BB13_525 Depth=1
	v_ashrrev_i32_e32 v5, 31, v4
	v_lshlrev_b64 v[28:29], 2, v[4:5]
	v_mov_b32_e32 v5, s25
	v_add_co_u32_e32 v28, vcc, s24, v28
	v_addc_co_u32_e32 v29, vcc, v5, v29, vcc
	global_load_dword v5, v[28:29], off
.LBB13_584:                             ;   in Loop: Header=BB13_525 Depth=1
	v_add_u32_e32 v6, s14, v6
	v_ashrrev_i32_e32 v7, 31, v6
	v_lshlrev_b64 v[6:7], 2, v[6:7]
	v_mov_b32_e32 v8, s39
	v_add_co_u32_e32 v6, vcc, s33, v6
	v_addc_co_u32_e32 v7, vcc, v8, v7, vcc
	s_waitcnt vmcnt(0)
	global_store_dword v[6:7], v5, off
.LBB13_585:                             ;   in Loop: Header=BB13_525 Depth=1
	s_or_b64 exec, exec, s[12:13]
	v_cmp_gt_i32_e32 vcc, 0, v9
	v_cndmask_b32_e64 v5, v32, 0, vcc
	v_xor_b32_e32 v5, v5, v9
	v_and_b32_e32 v5, s19, v5
	v_cmp_le_u32_e32 vcc, v5, v13
	s_and_saveexec_b64 s[12:13], vcc
	s_cbranch_execz .LBB13_592
; %bb.586:                              ;   in Loop: Header=BB13_525 Depth=1
	s_mov_b64 s[16:17], exec
	v_mbcnt_lo_u32_b32 v5, s16, 0
	v_mbcnt_hi_u32_b32 v6, s17, v5
	v_cmp_eq_u32_e32 vcc, 0, v6
                                        ; implicit-def: $vgpr5
	s_and_saveexec_b64 s[14:15], vcc
	s_cbranch_execz .LBB13_588
; %bb.587:                              ;   in Loop: Header=BB13_525 Depth=1
	s_bcnt1_i32_b64 s16, s[16:17]
	v_mov_b32_e32 v5, s16
	global_atomic_add v5, v15, v5, s[26:27] offset:384 glc
.LBB13_588:                             ;   in Loop: Header=BB13_525 Depth=1
	s_or_b64 exec, exec, s[14:15]
	s_and_b64 vcc, exec, s[4:5]
	s_waitcnt vmcnt(0)
	v_readfirstlane_b32 s14, v5
	s_cbranch_vccnz .LBB13_590
; %bb.589:                              ;   in Loop: Header=BB13_525 Depth=1
	v_ashrrev_i32_e32 v5, 31, v4
	v_lshlrev_b64 v[8:9], 2, v[4:5]
	v_mov_b32_e32 v5, s35
	v_add_co_u32_e32 v8, vcc, s29, v8
	v_addc_co_u32_e32 v9, vcc, v5, v9, vcc
	global_load_dword v5, v[8:9], off
	s_branch .LBB13_591
.LBB13_590:                             ;   in Loop: Header=BB13_525 Depth=1
	v_add_u32_e32 v5, 1, v4
.LBB13_591:                             ;   in Loop: Header=BB13_525 Depth=1
	v_add_u32_e32 v6, s14, v6
	v_ashrrev_i32_e32 v7, 31, v6
	v_lshlrev_b64 v[6:7], 2, v[6:7]
	v_mov_b32_e32 v8, s39
	v_add_co_u32_e32 v6, vcc, s33, v6
	v_addc_co_u32_e32 v7, vcc, v8, v7, vcc
	s_waitcnt vmcnt(0)
	global_store_dword v[6:7], v5, off
.LBB13_592:                             ;   in Loop: Header=BB13_525 Depth=1
	s_or_b64 exec, exec, s[12:13]
	v_cmp_gt_i32_e32 vcc, 0, v10
	v_cndmask_b32_e64 v5, v32, 0, vcc
	v_xor_b32_e32 v5, v5, v10
	v_and_b32_e32 v5, s19, v5
	v_cmp_le_u32_e32 vcc, v5, v13
	s_and_saveexec_b64 s[12:13], vcc
	s_cbranch_execz .LBB13_599
; %bb.593:                              ;   in Loop: Header=BB13_525 Depth=1
	s_mov_b64 s[16:17], exec
	v_mbcnt_lo_u32_b32 v5, s16, 0
	v_mbcnt_hi_u32_b32 v6, s17, v5
	v_cmp_eq_u32_e32 vcc, 0, v6
                                        ; implicit-def: $vgpr5
	s_and_saveexec_b64 s[14:15], vcc
	s_cbranch_execz .LBB13_595
; %bb.594:                              ;   in Loop: Header=BB13_525 Depth=1
	s_bcnt1_i32_b64 s16, s[16:17]
	v_mov_b32_e32 v5, s16
	global_atomic_add v5, v15, v5, s[26:27] offset:384 glc
.LBB13_595:                             ;   in Loop: Header=BB13_525 Depth=1
	s_or_b64 exec, exec, s[14:15]
	s_and_b64 vcc, exec, s[4:5]
	s_waitcnt vmcnt(0)
	v_readfirstlane_b32 s14, v5
	s_cbranch_vccnz .LBB13_597
; %bb.596:                              ;   in Loop: Header=BB13_525 Depth=1
	v_ashrrev_i32_e32 v5, 31, v4
	v_lshlrev_b64 v[8:9], 2, v[4:5]
	v_mov_b32_e32 v5, s67
	v_add_co_u32_e32 v8, vcc, s66, v8
	v_addc_co_u32_e32 v9, vcc, v5, v9, vcc
	global_load_dword v5, v[8:9], off
	s_branch .LBB13_598
.LBB13_597:                             ;   in Loop: Header=BB13_525 Depth=1
	v_add_u32_e32 v5, 2, v4
.LBB13_598:                             ;   in Loop: Header=BB13_525 Depth=1
	v_add_u32_e32 v6, s14, v6
	v_ashrrev_i32_e32 v7, 31, v6
	v_lshlrev_b64 v[6:7], 2, v[6:7]
	v_mov_b32_e32 v8, s39
	v_add_co_u32_e32 v6, vcc, s33, v6
	v_addc_co_u32_e32 v7, vcc, v8, v7, vcc
	s_waitcnt vmcnt(0)
	global_store_dword v[6:7], v5, off
.LBB13_599:                             ;   in Loop: Header=BB13_525 Depth=1
	;; [unrolled: 46-line block ×3, first 2 shown]
	s_or_b64 exec, exec, s[12:13]
	s_waitcnt vmcnt(0)
	v_cmp_gt_i32_e32 vcc, 0, v0
	v_cndmask_b32_e64 v5, v32, 0, vcc
	v_xor_b32_e32 v0, v5, v0
	v_and_b32_e32 v0, s19, v0
	v_lshl_add_u32 v4, v26, 2, s34
	v_cmp_le_u32_e32 vcc, v0, v13
	s_and_saveexec_b64 s[12:13], vcc
	s_cbranch_execz .LBB13_612
; %bb.607:                              ;   in Loop: Header=BB13_525 Depth=1
	s_mov_b64 s[16:17], exec
	v_mbcnt_lo_u32_b32 v0, s16, 0
	v_mbcnt_hi_u32_b32 v0, s17, v0
	v_cmp_eq_u32_e32 vcc, 0, v0
                                        ; implicit-def: $vgpr5
	s_and_saveexec_b64 s[14:15], vcc
	s_cbranch_execz .LBB13_609
; %bb.608:                              ;   in Loop: Header=BB13_525 Depth=1
	s_bcnt1_i32_b64 s16, s[16:17]
	v_mov_b32_e32 v5, s16
	global_atomic_add v5, v15, v5, s[26:27] offset:384 glc
.LBB13_609:                             ;   in Loop: Header=BB13_525 Depth=1
	s_or_b64 exec, exec, s[14:15]
	s_waitcnt vmcnt(0)
	v_readfirstlane_b32 s14, v5
	s_and_b64 vcc, exec, s[4:5]
	v_mov_b32_e32 v5, v4
	s_cbranch_vccnz .LBB13_611
; %bb.610:                              ;   in Loop: Header=BB13_525 Depth=1
	v_ashrrev_i32_e32 v5, 31, v4
	v_lshlrev_b64 v[6:7], 2, v[4:5]
	v_mov_b32_e32 v5, s25
	v_add_co_u32_e32 v6, vcc, s24, v6
	v_addc_co_u32_e32 v7, vcc, v5, v7, vcc
	global_load_dword v5, v[6:7], off
.LBB13_611:                             ;   in Loop: Header=BB13_525 Depth=1
	v_add_u32_e32 v6, s14, v0
	v_ashrrev_i32_e32 v7, 31, v6
	v_lshlrev_b64 v[6:7], 2, v[6:7]
	v_mov_b32_e32 v0, s39
	v_add_co_u32_e32 v6, vcc, s33, v6
	v_addc_co_u32_e32 v7, vcc, v0, v7, vcc
	s_waitcnt vmcnt(0)
	global_store_dword v[6:7], v5, off
.LBB13_612:                             ;   in Loop: Header=BB13_525 Depth=1
	s_or_b64 exec, exec, s[12:13]
	v_cmp_gt_i32_e32 vcc, 0, v1
	v_cndmask_b32_e64 v0, v32, 0, vcc
	v_xor_b32_e32 v0, v0, v1
	v_and_b32_e32 v0, s19, v0
	v_cmp_le_u32_e32 vcc, v0, v13
	s_and_saveexec_b64 s[12:13], vcc
	s_cbranch_execz .LBB13_619
; %bb.613:                              ;   in Loop: Header=BB13_525 Depth=1
	s_mov_b64 s[16:17], exec
	v_mbcnt_lo_u32_b32 v0, s16, 0
	v_mbcnt_hi_u32_b32 v0, s17, v0
	v_cmp_eq_u32_e32 vcc, 0, v0
                                        ; implicit-def: $vgpr1
	s_and_saveexec_b64 s[14:15], vcc
	s_cbranch_execz .LBB13_615
; %bb.614:                              ;   in Loop: Header=BB13_525 Depth=1
	s_bcnt1_i32_b64 s16, s[16:17]
	v_mov_b32_e32 v1, s16
	global_atomic_add v1, v15, v1, s[26:27] offset:384 glc
.LBB13_615:                             ;   in Loop: Header=BB13_525 Depth=1
	s_or_b64 exec, exec, s[14:15]
	s_and_b64 vcc, exec, s[4:5]
	s_waitcnt vmcnt(0)
	v_readfirstlane_b32 s14, v1
	s_cbranch_vccnz .LBB13_617
; %bb.616:                              ;   in Loop: Header=BB13_525 Depth=1
	v_ashrrev_i32_e32 v5, 31, v4
	v_lshlrev_b64 v[6:7], 2, v[4:5]
	v_mov_b32_e32 v1, s35
	v_add_co_u32_e32 v6, vcc, s29, v6
	v_addc_co_u32_e32 v7, vcc, v1, v7, vcc
	global_load_dword v1, v[6:7], off
	s_branch .LBB13_618
.LBB13_617:                             ;   in Loop: Header=BB13_525 Depth=1
	v_add_u32_e32 v1, 1, v4
.LBB13_618:                             ;   in Loop: Header=BB13_525 Depth=1
	v_add_u32_e32 v6, s14, v0
	v_ashrrev_i32_e32 v7, 31, v6
	v_lshlrev_b64 v[6:7], 2, v[6:7]
	v_mov_b32_e32 v0, s39
	v_add_co_u32_e32 v6, vcc, s33, v6
	v_addc_co_u32_e32 v7, vcc, v0, v7, vcc
	s_waitcnt vmcnt(0)
	global_store_dword v[6:7], v1, off
.LBB13_619:                             ;   in Loop: Header=BB13_525 Depth=1
	s_or_b64 exec, exec, s[12:13]
	v_cmp_gt_i32_e32 vcc, 0, v2
	v_cndmask_b32_e64 v0, v32, 0, vcc
	v_xor_b32_e32 v0, v0, v2
	v_and_b32_e32 v0, s19, v0
	v_cmp_le_u32_e32 vcc, v0, v13
	s_and_saveexec_b64 s[12:13], vcc
	s_cbranch_execz .LBB13_626
; %bb.620:                              ;   in Loop: Header=BB13_525 Depth=1
	s_mov_b64 s[16:17], exec
	v_mbcnt_lo_u32_b32 v0, s16, 0
	v_mbcnt_hi_u32_b32 v0, s17, v0
	v_cmp_eq_u32_e32 vcc, 0, v0
                                        ; implicit-def: $vgpr1
	s_and_saveexec_b64 s[14:15], vcc
	s_cbranch_execz .LBB13_622
; %bb.621:                              ;   in Loop: Header=BB13_525 Depth=1
	s_bcnt1_i32_b64 s16, s[16:17]
	v_mov_b32_e32 v1, s16
	global_atomic_add v1, v15, v1, s[26:27] offset:384 glc
.LBB13_622:                             ;   in Loop: Header=BB13_525 Depth=1
	s_or_b64 exec, exec, s[14:15]
	s_and_b64 vcc, exec, s[4:5]
	s_waitcnt vmcnt(0)
	v_readfirstlane_b32 s14, v1
	s_cbranch_vccnz .LBB13_624
; %bb.623:                              ;   in Loop: Header=BB13_525 Depth=1
	v_ashrrev_i32_e32 v5, 31, v4
	v_lshlrev_b64 v[6:7], 2, v[4:5]
	v_mov_b32_e32 v1, s67
	v_add_co_u32_e32 v6, vcc, s66, v6
	v_addc_co_u32_e32 v7, vcc, v1, v7, vcc
	global_load_dword v1, v[6:7], off
	s_branch .LBB13_625
.LBB13_624:                             ;   in Loop: Header=BB13_525 Depth=1
	v_add_u32_e32 v1, 2, v4
.LBB13_625:                             ;   in Loop: Header=BB13_525 Depth=1
	v_add_u32_e32 v6, s14, v0
	v_ashrrev_i32_e32 v7, 31, v6
	v_lshlrev_b64 v[6:7], 2, v[6:7]
	v_mov_b32_e32 v0, s39
	v_add_co_u32_e32 v6, vcc, s33, v6
	v_addc_co_u32_e32 v7, vcc, v0, v7, vcc
	s_waitcnt vmcnt(0)
	global_store_dword v[6:7], v1, off
.LBB13_626:                             ;   in Loop: Header=BB13_525 Depth=1
	s_or_b64 exec, exec, s[12:13]
	v_cmp_gt_i32_e32 vcc, 0, v3
	v_cndmask_b32_e64 v0, v32, 0, vcc
	v_xor_b32_e32 v0, v0, v3
	v_and_b32_e32 v0, s19, v0
	v_cmp_le_u32_e32 vcc, v0, v13
	s_and_saveexec_b64 s[12:13], vcc
	s_cbranch_execz .LBB13_524
; %bb.627:                              ;   in Loop: Header=BB13_525 Depth=1
	s_mov_b64 s[16:17], exec
	v_mbcnt_lo_u32_b32 v0, s16, 0
	v_mbcnt_hi_u32_b32 v0, s17, v0
	v_cmp_eq_u32_e32 vcc, 0, v0
                                        ; implicit-def: $vgpr1
	s_and_saveexec_b64 s[14:15], vcc
	s_cbranch_execz .LBB13_629
; %bb.628:                              ;   in Loop: Header=BB13_525 Depth=1
	s_bcnt1_i32_b64 s16, s[16:17]
	v_mov_b32_e32 v1, s16
	global_atomic_add v1, v15, v1, s[26:27] offset:384 glc
.LBB13_629:                             ;   in Loop: Header=BB13_525 Depth=1
	s_or_b64 exec, exec, s[14:15]
	s_and_b64 vcc, exec, s[4:5]
	s_waitcnt vmcnt(0)
	v_readfirstlane_b32 s14, v1
	s_cbranch_vccz .LBB13_522
; %bb.630:                              ;   in Loop: Header=BB13_525 Depth=1
	v_add_u32_e32 v1, 3, v4
	s_branch .LBB13_523
.LBB13_631:
                                        ; implicit-def: $sgpr0_sgpr1
	s_branch .LBB13_2
.LBB13_632:
	s_or_b64 exec, exec, s[8:9]
	v_mov_b32_e32 v4, v24
.LBB13_633:
	s_or_b64 exec, exec, s[10:11]
	v_cmp_gt_i32_e32 vcc, s30, v4
	s_and_saveexec_b64 s[8:9], vcc
	s_cbranch_execz .LBB13_663
; %bb.634:
	v_cndmask_b32_e64 v0, 0, 1, s[6:7]
	s_lshl_b32 s19, -1, s18
	s_waitcnt vmcnt(0)
	v_lshl_add_u32 v6, v4, 2, s34
	s_mov_b64 s[10:11], 0
	v_mov_b32_e32 v8, s70
	v_bfrev_b32_e32 v9, -2
	v_mov_b32_e32 v10, 0
	v_cmp_ne_u32_e64 s[4:5], 1, v0
	s_branch .LBB13_638
.LBB13_635:                             ;   in Loop: Header=BB13_638 Depth=1
	v_ashrrev_i32_e32 v7, 31, v6
	v_lshlrev_b64 v[2:3], 2, v[6:7]
	v_mov_b32_e32 v1, s69
	v_add_co_u32_e32 v2, vcc, s68, v2
	v_addc_co_u32_e32 v3, vcc, v1, v3, vcc
	global_load_dword v1, v[2:3], off
.LBB13_636:                             ;   in Loop: Header=BB13_638 Depth=1
	v_add_u32_e32 v2, s14, v0
	v_ashrrev_i32_e32 v3, 31, v2
	v_lshlrev_b64 v[2:3], 2, v[2:3]
	v_mov_b32_e32 v0, s39
	v_add_co_u32_e32 v2, vcc, s33, v2
	v_addc_co_u32_e32 v3, vcc, v0, v3, vcc
	s_waitcnt vmcnt(0)
	global_store_dword v[2:3], v1, off
.LBB13_637:                             ;   in Loop: Header=BB13_638 Depth=1
	s_or_b64 exec, exec, s[12:13]
	v_add_u32_e32 v4, s28, v4
	v_cmp_le_i32_e32 vcc, s30, v4
	s_or_b64 s[10:11], vcc, s[10:11]
	v_add_u32_e32 v6, s65, v6
	s_andn2_b64 exec, exec, s[10:11]
	s_cbranch_execz .LBB13_663
.LBB13_638:                             ; =>This Inner Loop Header: Depth=1
	v_ashrrev_i32_e32 v5, 31, v4
	v_lshlrev_b64 v[0:1], 4, v[4:5]
	v_add_co_u32_e32 v0, vcc, s64, v0
	v_addc_co_u32_e32 v1, vcc, v8, v1, vcc
	global_load_dwordx4 v[0:3], v[0:1], off
	s_waitcnt vmcnt(0)
	v_cmp_gt_i32_e32 vcc, 0, v0
	v_cndmask_b32_e64 v5, v9, 0, vcc
	v_xor_b32_e32 v0, v5, v0
	v_and_b32_e32 v0, s19, v0
	s_waitcnt lgkmcnt(0)
	v_cmp_le_u32_e32 vcc, v0, v13
	s_and_saveexec_b64 s[12:13], vcc
	s_cbranch_execz .LBB13_644
; %bb.639:                              ;   in Loop: Header=BB13_638 Depth=1
	s_mov_b64 s[16:17], exec
	v_mbcnt_lo_u32_b32 v0, s16, 0
	v_mbcnt_hi_u32_b32 v0, s17, v0
	v_cmp_eq_u32_e32 vcc, 0, v0
                                        ; implicit-def: $vgpr5
	s_and_saveexec_b64 s[14:15], vcc
	s_cbranch_execz .LBB13_641
; %bb.640:                              ;   in Loop: Header=BB13_638 Depth=1
	s_bcnt1_i32_b64 s16, s[16:17]
	v_mov_b32_e32 v5, s16
	global_atomic_add v5, v10, v5, s[26:27] offset:384 glc
.LBB13_641:                             ;   in Loop: Header=BB13_638 Depth=1
	s_or_b64 exec, exec, s[14:15]
	s_waitcnt vmcnt(0)
	v_readfirstlane_b32 s14, v5
	s_and_b64 vcc, exec, s[4:5]
	v_mov_b32_e32 v5, v6
	s_cbranch_vccnz .LBB13_643
; %bb.642:                              ;   in Loop: Header=BB13_638 Depth=1
	v_ashrrev_i32_e32 v7, 31, v6
	v_lshlrev_b64 v[24:25], 2, v[6:7]
	v_mov_b32_e32 v5, s25
	v_add_co_u32_e32 v24, vcc, s24, v24
	v_addc_co_u32_e32 v25, vcc, v5, v25, vcc
	global_load_dword v5, v[24:25], off
.LBB13_643:                             ;   in Loop: Header=BB13_638 Depth=1
	v_add_u32_e32 v24, s14, v0
	v_ashrrev_i32_e32 v25, 31, v24
	v_lshlrev_b64 v[24:25], 2, v[24:25]
	v_mov_b32_e32 v0, s39
	v_add_co_u32_e32 v24, vcc, s33, v24
	v_addc_co_u32_e32 v25, vcc, v0, v25, vcc
	s_waitcnt vmcnt(0)
	global_store_dword v[24:25], v5, off
.LBB13_644:                             ;   in Loop: Header=BB13_638 Depth=1
	s_or_b64 exec, exec, s[12:13]
	v_cmp_gt_i32_e32 vcc, 0, v1
	v_cndmask_b32_e64 v0, v9, 0, vcc
	v_xor_b32_e32 v0, v0, v1
	v_and_b32_e32 v0, s19, v0
	v_cmp_le_u32_e32 vcc, v0, v13
	s_and_saveexec_b64 s[12:13], vcc
	s_cbranch_execz .LBB13_651
; %bb.645:                              ;   in Loop: Header=BB13_638 Depth=1
	s_mov_b64 s[16:17], exec
	v_mbcnt_lo_u32_b32 v0, s16, 0
	v_mbcnt_hi_u32_b32 v0, s17, v0
	v_cmp_eq_u32_e32 vcc, 0, v0
                                        ; implicit-def: $vgpr1
	s_and_saveexec_b64 s[14:15], vcc
	s_cbranch_execz .LBB13_647
; %bb.646:                              ;   in Loop: Header=BB13_638 Depth=1
	s_bcnt1_i32_b64 s16, s[16:17]
	v_mov_b32_e32 v1, s16
	global_atomic_add v1, v10, v1, s[26:27] offset:384 glc
.LBB13_647:                             ;   in Loop: Header=BB13_638 Depth=1
	s_or_b64 exec, exec, s[14:15]
	s_and_b64 vcc, exec, s[4:5]
	s_waitcnt vmcnt(0)
	v_readfirstlane_b32 s14, v1
	s_cbranch_vccnz .LBB13_649
; %bb.648:                              ;   in Loop: Header=BB13_638 Depth=1
	v_ashrrev_i32_e32 v7, 31, v6
	v_lshlrev_b64 v[24:25], 2, v[6:7]
	v_mov_b32_e32 v1, s35
	v_add_co_u32_e32 v24, vcc, s29, v24
	v_addc_co_u32_e32 v25, vcc, v1, v25, vcc
	global_load_dword v1, v[24:25], off
	s_branch .LBB13_650
.LBB13_649:                             ;   in Loop: Header=BB13_638 Depth=1
	v_add_u32_e32 v1, 1, v6
.LBB13_650:                             ;   in Loop: Header=BB13_638 Depth=1
	v_add_u32_e32 v24, s14, v0
	v_ashrrev_i32_e32 v25, 31, v24
	v_lshlrev_b64 v[24:25], 2, v[24:25]
	v_mov_b32_e32 v0, s39
	v_add_co_u32_e32 v24, vcc, s33, v24
	v_addc_co_u32_e32 v25, vcc, v0, v25, vcc
	s_waitcnt vmcnt(0)
	global_store_dword v[24:25], v1, off
.LBB13_651:                             ;   in Loop: Header=BB13_638 Depth=1
	s_or_b64 exec, exec, s[12:13]
	v_cmp_gt_i32_e32 vcc, 0, v2
	v_cndmask_b32_e64 v0, v9, 0, vcc
	v_xor_b32_e32 v0, v0, v2
	v_and_b32_e32 v0, s19, v0
	v_cmp_le_u32_e32 vcc, v0, v13
	s_and_saveexec_b64 s[12:13], vcc
	s_cbranch_execz .LBB13_658
; %bb.652:                              ;   in Loop: Header=BB13_638 Depth=1
	s_mov_b64 s[16:17], exec
	v_mbcnt_lo_u32_b32 v0, s16, 0
	v_mbcnt_hi_u32_b32 v0, s17, v0
	v_cmp_eq_u32_e32 vcc, 0, v0
                                        ; implicit-def: $vgpr1
	s_and_saveexec_b64 s[14:15], vcc
	s_cbranch_execz .LBB13_654
; %bb.653:                              ;   in Loop: Header=BB13_638 Depth=1
	s_bcnt1_i32_b64 s16, s[16:17]
	v_mov_b32_e32 v1, s16
	global_atomic_add v1, v10, v1, s[26:27] offset:384 glc
.LBB13_654:                             ;   in Loop: Header=BB13_638 Depth=1
	s_or_b64 exec, exec, s[14:15]
	s_and_b64 vcc, exec, s[4:5]
	s_waitcnt vmcnt(0)
	v_readfirstlane_b32 s14, v1
	s_cbranch_vccnz .LBB13_656
; %bb.655:                              ;   in Loop: Header=BB13_638 Depth=1
	v_ashrrev_i32_e32 v7, 31, v6
	v_lshlrev_b64 v[24:25], 2, v[6:7]
	v_mov_b32_e32 v1, s67
	v_add_co_u32_e32 v24, vcc, s66, v24
	v_addc_co_u32_e32 v25, vcc, v1, v25, vcc
	global_load_dword v1, v[24:25], off
	s_branch .LBB13_657
.LBB13_656:                             ;   in Loop: Header=BB13_638 Depth=1
	v_add_u32_e32 v1, 2, v6
.LBB13_657:                             ;   in Loop: Header=BB13_638 Depth=1
	v_add_u32_e32 v24, s14, v0
	v_ashrrev_i32_e32 v25, 31, v24
	v_lshlrev_b64 v[24:25], 2, v[24:25]
	v_mov_b32_e32 v0, s39
	v_add_co_u32_e32 v24, vcc, s33, v24
	v_addc_co_u32_e32 v25, vcc, v0, v25, vcc
	s_waitcnt vmcnt(0)
	global_store_dword v[24:25], v1, off
.LBB13_658:                             ;   in Loop: Header=BB13_638 Depth=1
	s_or_b64 exec, exec, s[12:13]
	v_cmp_gt_i32_e32 vcc, 0, v3
	v_cndmask_b32_e64 v0, v9, 0, vcc
	v_xor_b32_e32 v0, v0, v3
	v_and_b32_e32 v0, s19, v0
	v_cmp_le_u32_e32 vcc, v0, v13
	s_and_saveexec_b64 s[12:13], vcc
	s_cbranch_execz .LBB13_637
; %bb.659:                              ;   in Loop: Header=BB13_638 Depth=1
	s_mov_b64 s[16:17], exec
	v_mbcnt_lo_u32_b32 v0, s16, 0
	v_mbcnt_hi_u32_b32 v0, s17, v0
	v_cmp_eq_u32_e32 vcc, 0, v0
                                        ; implicit-def: $vgpr1
	s_and_saveexec_b64 s[14:15], vcc
	s_cbranch_execz .LBB13_661
; %bb.660:                              ;   in Loop: Header=BB13_638 Depth=1
	s_bcnt1_i32_b64 s16, s[16:17]
	v_mov_b32_e32 v1, s16
	global_atomic_add v1, v10, v1, s[26:27] offset:384 glc
.LBB13_661:                             ;   in Loop: Header=BB13_638 Depth=1
	s_or_b64 exec, exec, s[14:15]
	s_and_b64 vcc, exec, s[4:5]
	s_waitcnt vmcnt(0)
	v_readfirstlane_b32 s14, v1
	s_cbranch_vccz .LBB13_635
; %bb.662:                              ;   in Loop: Header=BB13_638 Depth=1
	v_add_u32_e32 v1, 3, v6
	s_branch .LBB13_636
.LBB13_663:
	s_or_b64 exec, exec, s[8:9]
	s_and_saveexec_b64 s[4:5], s[2:3]
	s_cbranch_execz .LBB13_670
; %bb.664:
	global_load_dword v0, v[20:21], off
	v_bfrev_b32_e32 v1, -2
	s_lshl_b32 s2, -1, s18
	s_waitcnt vmcnt(0)
	v_cmp_gt_i32_e32 vcc, 0, v0
	v_cndmask_b32_e64 v1, v1, 0, vcc
	v_xor_b32_e32 v0, v1, v0
	v_and_b32_e32 v0, s2, v0
	s_waitcnt lgkmcnt(0)
	v_cmp_le_u32_e32 vcc, v0, v13
	s_and_b64 exec, exec, vcc
	s_cbranch_execz .LBB13_670
; %bb.665:
	s_mov_b64 s[8:9], exec
	v_mbcnt_lo_u32_b32 v0, s8, 0
	v_mbcnt_hi_u32_b32 v0, s9, v0
	v_cmp_eq_u32_e32 vcc, 0, v0
                                        ; implicit-def: $vgpr1
	s_and_saveexec_b64 s[2:3], vcc
	s_cbranch_execz .LBB13_667
; %bb.666:
	s_bcnt1_i32_b64 s8, s[8:9]
	v_mov_b32_e32 v1, 0
	v_mov_b32_e32 v2, s8
	global_atomic_add v1, v1, v2, s[26:27] offset:384 glc
.LBB13_667:
	s_or_b64 exec, exec, s[2:3]
	s_andn2_b64 vcc, exec, s[6:7]
	s_waitcnt vmcnt(0)
	v_readfirstlane_b32 s2, v1
	s_cbranch_vccnz .LBB13_669
; %bb.668:
	global_load_dword v14, v[22:23], off
.LBB13_669:
	v_add_u32_e32 v0, s2, v0
	v_ashrrev_i32_e32 v1, 31, v0
	v_lshlrev_b64 v[0:1], 2, v[0:1]
	v_mov_b32_e32 v2, s39
	v_add_co_u32_e32 v0, vcc, s33, v0
	v_addc_co_u32_e32 v1, vcc, v2, v1, vcc
	s_waitcnt vmcnt(0)
	global_store_dword v[0:1], v14, off
.LBB13_670:
	s_or_b64 exec, exec, s[4:5]
	s_and_saveexec_b64 s[2:3], s[0:1]
	s_cbranch_execz .LBB13_677
; %bb.671:
	global_load_dword v0, v[16:17], off
	v_bfrev_b32_e32 v1, -2
	s_lshl_b32 s0, -1, s18
	s_waitcnt vmcnt(0)
	v_cmp_gt_i32_e32 vcc, 0, v0
	v_cndmask_b32_e64 v1, v1, 0, vcc
	v_xor_b32_e32 v0, v1, v0
	v_and_b32_e32 v0, s0, v0
	s_waitcnt lgkmcnt(0)
	v_cmp_le_u32_e32 vcc, v0, v13
	s_and_b64 exec, exec, vcc
	s_cbranch_execz .LBB13_677
; %bb.672:
	s_mov_b64 s[2:3], exec
	v_mbcnt_lo_u32_b32 v0, s2, 0
	v_mbcnt_hi_u32_b32 v0, s3, v0
	v_cmp_eq_u32_e32 vcc, 0, v0
                                        ; implicit-def: $vgpr1
	s_and_saveexec_b64 s[0:1], vcc
	s_cbranch_execz .LBB13_674
; %bb.673:
	s_bcnt1_i32_b64 s2, s[2:3]
	v_mov_b32_e32 v1, 0
	v_mov_b32_e32 v2, s2
	global_atomic_add v1, v1, v2, s[26:27] offset:384 glc
.LBB13_674:
	s_or_b64 exec, exec, s[0:1]
	s_andn2_b64 vcc, exec, s[6:7]
	s_waitcnt vmcnt(0)
	v_readfirstlane_b32 s0, v1
	s_cbranch_vccnz .LBB13_676
; %bb.675:
	global_load_dword v12, v[18:19], off
.LBB13_676:
	v_add_u32_e32 v0, s0, v0
	v_ashrrev_i32_e32 v1, 31, v0
	v_lshlrev_b64 v[0:1], 2, v[0:1]
	v_mov_b32_e32 v2, s39
	v_add_co_u32_e32 v0, vcc, s33, v0
	v_addc_co_u32_e32 v1, vcc, v2, v1, vcc
	s_waitcnt vmcnt(0)
	global_store_dword v[0:1], v12, off
.LBB13_677:
	s_endpgm
	.section	.rodata,"a",@progbits
	.p2align	6, 0x0
	.amdhsa_kernel _ZN5aiter2mb23radix_kernel_persistentIfiLi11ELi1024ELb0ELb0ELNS0_5PhaseE1EEEvPKT_PKT0_PS3_PS6_PNS0_7CounterIS3_S6_EESA_S6_S8_S8_S6_S6_b
		.amdhsa_group_segment_fixed_size 16912
		.amdhsa_private_segment_fixed_size 0
		.amdhsa_kernarg_size 344
		.amdhsa_user_sgpr_count 6
		.amdhsa_user_sgpr_private_segment_buffer 1
		.amdhsa_user_sgpr_dispatch_ptr 0
		.amdhsa_user_sgpr_queue_ptr 0
		.amdhsa_user_sgpr_kernarg_segment_ptr 1
		.amdhsa_user_sgpr_dispatch_id 0
		.amdhsa_user_sgpr_flat_scratch_init 0
		.amdhsa_user_sgpr_kernarg_preload_length 0
		.amdhsa_user_sgpr_kernarg_preload_offset 0
		.amdhsa_user_sgpr_private_segment_size 0
		.amdhsa_uses_dynamic_stack 0
		.amdhsa_system_sgpr_private_segment_wavefront_offset 0
		.amdhsa_system_sgpr_workgroup_id_x 1
		.amdhsa_system_sgpr_workgroup_id_y 1
		.amdhsa_system_sgpr_workgroup_id_z 0
		.amdhsa_system_sgpr_workgroup_info 0
		.amdhsa_system_vgpr_workitem_id 2
		.amdhsa_next_free_vgpr 70
		.amdhsa_next_free_sgpr 94
		.amdhsa_accum_offset 72
		.amdhsa_reserve_vcc 1
		.amdhsa_reserve_flat_scratch 0
		.amdhsa_float_round_mode_32 0
		.amdhsa_float_round_mode_16_64 0
		.amdhsa_float_denorm_mode_32 3
		.amdhsa_float_denorm_mode_16_64 3
		.amdhsa_dx10_clamp 1
		.amdhsa_ieee_mode 1
		.amdhsa_fp16_overflow 0
		.amdhsa_tg_split 0
		.amdhsa_exception_fp_ieee_invalid_op 0
		.amdhsa_exception_fp_denorm_src 0
		.amdhsa_exception_fp_ieee_div_zero 0
		.amdhsa_exception_fp_ieee_overflow 0
		.amdhsa_exception_fp_ieee_underflow 0
		.amdhsa_exception_fp_ieee_inexact 0
		.amdhsa_exception_int_div_zero 0
	.end_amdhsa_kernel
	.section	.text._ZN5aiter2mb23radix_kernel_persistentIfiLi11ELi1024ELb0ELb0ELNS0_5PhaseE1EEEvPKT_PKT0_PS3_PS6_PNS0_7CounterIS3_S6_EESA_S6_S8_S8_S6_S6_b,"axG",@progbits,_ZN5aiter2mb23radix_kernel_persistentIfiLi11ELi1024ELb0ELb0ELNS0_5PhaseE1EEEvPKT_PKT0_PS3_PS6_PNS0_7CounterIS3_S6_EESA_S6_S8_S8_S6_S6_b,comdat
.Lfunc_end13:
	.size	_ZN5aiter2mb23radix_kernel_persistentIfiLi11ELi1024ELb0ELb0ELNS0_5PhaseE1EEEvPKT_PKT0_PS3_PS6_PNS0_7CounterIS3_S6_EESA_S6_S8_S8_S6_S6_b, .Lfunc_end13-_ZN5aiter2mb23radix_kernel_persistentIfiLi11ELi1024ELb0ELb0ELNS0_5PhaseE1EEEvPKT_PKT0_PS3_PS6_PNS0_7CounterIS3_S6_EESA_S6_S8_S8_S6_S6_b
                                        ; -- End function
	.section	.AMDGPU.csdata,"",@progbits
; Kernel info:
; codeLenInByte = 21488
; NumSgprs: 98
; NumVgprs: 70
; NumAgprs: 0
; TotalNumVgprs: 70
; ScratchSize: 0
; MemoryBound: 0
; FloatMode: 240
; IeeeMode: 1
; LDSByteSize: 16912 bytes/workgroup (compile time only)
; SGPRBlocks: 12
; VGPRBlocks: 8
; NumSGPRsForWavesPerEU: 98
; NumVGPRsForWavesPerEU: 70
; AccumOffset: 72
; Occupancy: 7
; WaveLimiterHint : 1
; COMPUTE_PGM_RSRC2:SCRATCH_EN: 0
; COMPUTE_PGM_RSRC2:USER_SGPR: 6
; COMPUTE_PGM_RSRC2:TRAP_HANDLER: 0
; COMPUTE_PGM_RSRC2:TGID_X_EN: 1
; COMPUTE_PGM_RSRC2:TGID_Y_EN: 1
; COMPUTE_PGM_RSRC2:TGID_Z_EN: 0
; COMPUTE_PGM_RSRC2:TIDIG_COMP_CNT: 2
; COMPUTE_PGM_RSRC3_GFX90A:ACCUM_OFFSET: 17
; COMPUTE_PGM_RSRC3_GFX90A:TG_SPLIT: 0
	.section	.text._ZN5aiter2mb23radix_kernel_persistentIfiLi10ELi1024ELb0ELb0ELNS0_5PhaseE1EEEvPKT_PKT0_PS3_PS6_PNS0_7CounterIS3_S6_EESA_S6_S8_S8_S6_S6_b,"axG",@progbits,_ZN5aiter2mb23radix_kernel_persistentIfiLi10ELi1024ELb0ELb0ELNS0_5PhaseE1EEEvPKT_PKT0_PS3_PS6_PNS0_7CounterIS3_S6_EESA_S6_S8_S8_S6_S6_b,comdat
	.protected	_ZN5aiter2mb23radix_kernel_persistentIfiLi10ELi1024ELb0ELb0ELNS0_5PhaseE1EEEvPKT_PKT0_PS3_PS6_PNS0_7CounterIS3_S6_EESA_S6_S8_S8_S6_S6_b ; -- Begin function _ZN5aiter2mb23radix_kernel_persistentIfiLi10ELi1024ELb0ELb0ELNS0_5PhaseE1EEEvPKT_PKT0_PS3_PS6_PNS0_7CounterIS3_S6_EESA_S6_S8_S8_S6_S6_b
	.globl	_ZN5aiter2mb23radix_kernel_persistentIfiLi10ELi1024ELb0ELb0ELNS0_5PhaseE1EEEvPKT_PKT0_PS3_PS6_PNS0_7CounterIS3_S6_EESA_S6_S8_S8_S6_S6_b
	.p2align	8
	.type	_ZN5aiter2mb23radix_kernel_persistentIfiLi10ELi1024ELb0ELb0ELNS0_5PhaseE1EEEvPKT_PKT0_PS3_PS6_PNS0_7CounterIS3_S6_EESA_S6_S8_S8_S6_S6_b,@function
_ZN5aiter2mb23radix_kernel_persistentIfiLi10ELi1024ELb0ELb0ELNS0_5PhaseE1EEEvPKT_PKT0_PS3_PS6_PNS0_7CounterIS3_S6_EESA_S6_S8_S8_S6_S6_b: ; @_ZN5aiter2mb23radix_kernel_persistentIfiLi10ELi1024ELb0ELb0ELNS0_5PhaseE1EEEvPKT_PKT0_PS3_PS6_PNS0_7CounterIS3_S6_EESA_S6_S8_S8_S6_S6_b
; %bb.0:
	s_load_dwordx2 s[36:37], s[4:5], 0x48
	s_mov_b32 s13, 0
	s_mov_b32 s2, s13
	;; [unrolled: 1-line block ×3, first 2 shown]
	s_waitcnt lgkmcnt(0)
	s_ashr_i32 s0, s37, 31
	s_mov_b32 s3, s0
	s_cmp_lg_u64 s[2:3], 0
	s_mov_b32 s7, s37
	s_cbranch_scc0 .LBB14_629
; %bb.1:
	s_add_u32 s8, s7, s0
	s_mov_b32 s2, s0
	s_mov_b32 s3, s0
	s_addc_u32 s9, s0, s0
	s_xor_b64 s[10:11], s[8:9], s[2:3]
	v_cvt_f32_u32_e32 v1, s10
	v_cvt_f32_u32_e32 v2, s11
	s_sub_u32 s0, 0, s10
	s_subb_u32 s1, 0, s11
	v_madmk_f32 v1, v2, 0x4f800000, v1
	v_rcp_f32_e32 v1, v1
	v_mul_f32_e32 v1, 0x5f7ffffc, v1
	v_mul_f32_e32 v2, 0x2f800000, v1
	v_trunc_f32_e32 v2, v2
	v_madmk_f32 v1, v2, 0xcf800000, v1
	v_cvt_u32_f32_e32 v2, v2
	v_cvt_u32_f32_e32 v1, v1
	v_readfirstlane_b32 s14, v2
	v_readfirstlane_b32 s15, v1
	s_mul_i32 s16, s0, s14
	s_mul_hi_u32 s18, s0, s15
	s_mul_i32 s17, s1, s15
	s_add_i32 s16, s18, s16
	s_add_i32 s16, s16, s17
	s_mul_i32 s19, s0, s15
	s_mul_hi_u32 s17, s15, s16
	s_mul_i32 s18, s15, s16
	s_mul_hi_u32 s15, s15, s19
	s_add_u32 s15, s15, s18
	s_addc_u32 s17, 0, s17
	s_mul_hi_u32 s20, s14, s19
	s_mul_i32 s19, s14, s19
	s_add_u32 s15, s15, s19
	s_mul_hi_u32 s18, s14, s16
	s_addc_u32 s15, s17, s20
	s_addc_u32 s17, s18, 0
	s_mul_i32 s16, s14, s16
	s_add_u32 s15, s15, s16
	s_addc_u32 s16, 0, s17
	v_add_co_u32_e32 v1, vcc, s15, v1
	s_cmp_lg_u64 vcc, 0
	s_addc_u32 s14, s14, s16
	v_readfirstlane_b32 s16, v1
	s_mul_i32 s15, s0, s14
	s_mul_hi_u32 s17, s0, s16
	s_add_i32 s15, s17, s15
	s_mul_i32 s1, s1, s16
	s_add_i32 s15, s15, s1
	s_mul_i32 s0, s0, s16
	s_mul_hi_u32 s17, s14, s0
	s_mul_i32 s18, s14, s0
	s_mul_i32 s20, s16, s15
	s_mul_hi_u32 s0, s16, s0
	s_mul_hi_u32 s19, s16, s15
	s_add_u32 s0, s0, s20
	s_addc_u32 s16, 0, s19
	s_add_u32 s0, s0, s18
	s_mul_hi_u32 s1, s14, s15
	s_addc_u32 s0, s16, s17
	s_addc_u32 s1, s1, 0
	s_mul_i32 s15, s14, s15
	s_add_u32 s0, s0, s15
	s_addc_u32 s1, 0, s1
	v_add_co_u32_e32 v1, vcc, s0, v1
	s_cmp_lg_u64 vcc, 0
	s_addc_u32 s0, s14, s1
	v_readfirstlane_b32 s14, v1
	s_mul_hi_u32 s1, s12, s0
	s_mul_i32 s0, s12, s0
	s_mul_hi_u32 s14, s12, s14
	s_add_u32 s0, s14, s0
	s_addc_u32 s1, 0, s1
	s_add_u32 s0, s0, 0
	s_addc_u32 s0, s1, 0
	s_addc_u32 s1, 0, 0
	s_add_u32 s14, s0, 0
	s_addc_u32 s15, 0, s1
	s_mul_i32 s0, s10, s15
	s_mul_hi_u32 s1, s10, s14
	s_add_i32 s0, s1, s0
	s_mul_i32 s1, s11, s14
	s_add_i32 s16, s0, s1
	s_mul_i32 s1, s10, s14
	v_mov_b32_e32 v1, s1
	s_sub_i32 s0, 0, s16
	v_sub_co_u32_e32 v1, vcc, s12, v1
	s_cmp_lg_u64 vcc, 0
	s_subb_u32 s17, s0, s11
	v_subrev_co_u32_e64 v2, s[0:1], s10, v1
	s_cmp_lg_u64 s[0:1], 0
	s_subb_u32 s0, s17, 0
	s_cmp_ge_u32 s0, s11
	v_readfirstlane_b32 s17, v2
	s_cselect_b32 s1, -1, 0
	s_cmp_ge_u32 s17, s10
	s_cselect_b32 s17, -1, 0
	s_cmp_eq_u32 s0, s11
	s_cselect_b32 s0, s17, s1
	s_add_u32 s1, s14, 1
	s_addc_u32 s17, s15, 0
	s_add_u32 s18, s14, 2
	s_addc_u32 s19, s15, 0
	s_cmp_lg_u32 s0, 0
	s_cselect_b32 s0, s18, s1
	s_cselect_b32 s1, s19, s17
	s_cmp_lg_u64 vcc, 0
	s_subb_u32 s16, 0, s16
	s_cmp_ge_u32 s16, s11
	v_readfirstlane_b32 s18, v1
	s_cselect_b32 s17, -1, 0
	s_cmp_ge_u32 s18, s10
	s_cselect_b32 s10, -1, 0
	s_cmp_eq_u32 s16, s11
	s_cselect_b32 s10, s10, s17
	s_cmp_lg_u32 s10, 0
	s_cselect_b32 s1, s1, s15
	s_cselect_b32 s0, s0, s14
	s_xor_b64 s[0:1], s[0:1], s[2:3]
	s_sub_u32 s0, s0, s2
	s_subb_u32 s1, s1, s3
	s_cbranch_execnz .LBB14_3
.LBB14_2:
	v_cvt_f32_u32_e32 v1, s7
	s_sub_i32 s0, 0, s7
	s_mov_b32 s1, 0
	v_rcp_iflag_f32_e32 v1, v1
	v_mul_f32_e32 v1, 0x4f7ffffe, v1
	v_cvt_u32_f32_e32 v1, v1
	v_readfirstlane_b32 s2, v1
	s_mul_i32 s0, s0, s2
	s_mul_hi_u32 s0, s2, s0
	s_add_i32 s2, s2, s0
	s_mul_hi_u32 s0, s12, s2
	s_mul_i32 s3, s0, s7
	s_sub_i32 s3, s12, s3
	s_add_i32 s2, s0, 1
	s_sub_i32 s8, s3, s7
	s_cmp_ge_u32 s3, s7
	s_cselect_b32 s0, s2, s0
	s_cselect_b32 s3, s8, s3
	s_add_i32 s2, s0, 1
	s_cmp_ge_u32 s3, s7
	s_cselect_b32 s0, s2, s0
.LBB14_3:
	s_load_dwordx2 s[2:3], s[4:5], 0x40
	s_load_dword s16, s[4:5], 0x64
	s_lshl_b64 s[8:9], s[0:1], 2
	s_mul_i32 s0, s0, s7
	v_and_b32_e32 v28, 0x3ff, v0
	s_waitcnt lgkmcnt(0)
	s_add_u32 s2, s2, s8
	s_addc_u32 s3, s3, s9
	s_load_dword s1, s[2:3], 0x0
	s_sub_i32 s0, s12, s0
	v_cmp_eq_u32_e64 s[18:19], 0, v28
	s_waitcnt lgkmcnt(0)
	s_sub_i32 s1, s1, s7
	s_add_i32 s7, s1, s0
	s_add_i32 s7, s7, 1
	s_add_u32 s38, s4, 0x58
	s_addc_u32 s39, s5, 0
	s_and_saveexec_b64 s[0:1], s[18:19]
	s_cbranch_execz .LBB14_5
; %bb.4:
	v_mov_b32_e32 v2, 0
	v_mov_b32_e32 v3, s36
	v_mov_b32_e32 v4, s7
	ds_write_b96 v2, v[2:4] offset:8576
.LBB14_5:
	s_or_b64 exec, exec, s[0:1]
	s_load_dword s14, s[4:5], 0x30
	s_load_dword s76, s[4:5], 0x58
	s_load_dwordx4 s[8:11], s[4:5], 0x0
	s_load_dwordx4 s[0:3], s[4:5], 0x18
	s_waitcnt lgkmcnt(0)
	s_ashr_i32 s15, s14, 31
	s_mul_hi_u32 s17, s14, s12
	s_mul_i32 s15, s15, s12
	s_add_i32 s15, s17, s15
	s_mul_i32 s14, s14, s12
	s_lshl_b64 s[14:15], s[14:15], 2
	s_add_u32 s17, s10, s14
	s_addc_u32 s20, s11, s15
	s_cmp_lg_u64 s[10:11], 0
	s_cselect_b32 s21, s20, 0
	s_cselect_b32 s20, s17, 0
	s_ashr_i32 s10, s36, 31
	s_mul_hi_u32 s11, s36, s12
	s_mul_i32 s10, s10, s12
	s_add_i32 s11, s11, s10
	s_mul_i32 s10, s36, s12
	s_lshl_b64 s[10:11], s[10:11], 2
	s_add_u32 s33, s0, s10
	s_addc_u32 s37, s1, s11
	s_and_b32 s71, 0xffff, s16
	s_cmp_le_i32 s7, s36
	s_mov_b64 s[0:1], -1
	s_barrier
	s_cbranch_scc0 .LBB14_14
; %bb.6:
	s_cmp_eq_u32 s6, 0
	s_cselect_b64 s[0:1], -1, 0
	v_cmp_gt_i32_e32 vcc, s36, v28
	s_and_b64 s[0:1], s[0:1], vcc
	s_and_saveexec_b64 s[10:11], s[0:1]
	s_cbranch_execz .LBB14_13
; %bb.7:
	s_cmp_eq_u64 s[20:21], 0
	s_mov_b64 s[16:17], 0
	s_cselect_b64 s[22:23], -1, 0
	v_mov_b32_e32 v1, s37
	v_mov_b32_e32 v2, v28
	s_branch .LBB14_9
.LBB14_8:                               ;   in Loop: Header=BB14_9 Depth=1
	s_or_b64 exec, exec, s[0:1]
	v_lshlrev_b64 v[6:7], 2, v[2:3]
	v_add_co_u32_e32 v6, vcc, s33, v6
	v_addc_co_u32_e32 v7, vcc, v1, v7, vcc
	v_add_u32_e32 v2, s71, v2
	v_cmp_le_i32_e32 vcc, s36, v2
	s_or_b64 s[16:17], vcc, s[16:17]
	s_waitcnt vmcnt(0)
	global_store_dword v[6:7], v4, off
	s_andn2_b64 exec, exec, s[16:17]
	s_cbranch_execz .LBB14_13
.LBB14_9:                               ; =>This Inner Loop Header: Depth=1
	v_cmp_le_i32_e32 vcc, s7, v2
	s_or_b64 s[0:1], vcc, s[22:23]
	s_xor_b64 s[0:1], s[0:1], -1
                                        ; implicit-def: $vgpr4
	s_and_saveexec_b64 s[24:25], s[0:1]
	s_xor_b64 s[24:25], exec, s[24:25]
	s_cbranch_execz .LBB14_11
; %bb.10:                               ;   in Loop: Header=BB14_9 Depth=1
	v_ashrrev_i32_e32 v3, 31, v2
	v_lshlrev_b64 v[4:5], 2, v[2:3]
	v_mov_b32_e32 v6, s21
	v_add_co_u32_e64 v4, s[0:1], s20, v4
	v_addc_co_u32_e64 v5, s[0:1], v6, v5, s[0:1]
	global_load_dword v4, v[4:5], off
.LBB14_11:                              ;   in Loop: Header=BB14_9 Depth=1
	s_andn2_saveexec_b64 s[0:1], s[24:25]
	s_cbranch_execz .LBB14_8
; %bb.12:                               ;   in Loop: Header=BB14_9 Depth=1
	s_waitcnt vmcnt(0)
	v_cndmask_b32_e64 v4, v2, -1, vcc
	v_ashrrev_i32_e32 v3, 31, v2
	s_branch .LBB14_8
.LBB14_13:
	s_or_b64 exec, exec, s[10:11]
	s_mov_b64 s[0:1], 0
.LBB14_14:
	s_andn2_b64 vcc, exec, s[0:1]
	s_cbranch_vccnz .LBB14_675
; %bb.15:
	s_load_dwordx2 s[0:1], s[4:5], 0x28
	s_mul_i32 s5, s12, 0x300
	s_mul_hi_u32 s4, s12, 0x300
	s_add_u32 s22, s2, s5
	s_addc_u32 s23, s3, s4
	s_lshl_b64 s[2:3], s[12:13], 14
	s_waitcnt lgkmcnt(0)
	s_add_u32 s40, s0, s2
	s_addc_u32 s41, s1, s3
	v_mov_b32_e32 v31, 0
	s_add_u32 s8, s8, s14
	v_mov_b32_e32 v29, v31
	v_mov_b32_e32 v1, s6
	s_addc_u32 s9, s9, s15
	v_mad_u64_u32 v[14:15], s[0:1], s71, v1, v[28:29]
	s_and_b32 s42, s8, 15
	s_sub_i32 s0, 16, s42
	s_mov_b32 s43, 0
	s_lshr_b32 s0, s0, 2
	s_cmp_lg_u64 s[42:43], 0
	s_cselect_b32 s0, s0, 0
	s_min_i32 s30, s0, s7
	s_ashr_i32 s31, s30, 31
	s_lshl_b64 s[0:1], s[30:31], 2
	s_add_u32 s62, s8, s0
	s_addc_u32 s68, s9, s1
	s_sub_i32 s0, s7, s30
	s_ashr_i32 s1, s0, 31
	s_lshr_b32 s1, s1, 30
	s_mul_hi_u32 s27, s71, s76
	s_mul_i32 s26, s71, s76
	s_add_i32 s10, s0, s1
	s_ashr_i32 s28, s10, 2
	s_mul_i32 s2, s27, 3
	s_mul_hi_u32 s0, s26, 3
	s_lshl_b32 s63, s26, 2
	s_add_i32 s69, s0, s2
	s_ashr_i32 s29, s28, 31
	s_lshl_b64 s[34:35], s[26:27], 4
	s_add_u32 s72, s62, s34
	s_addc_u32 s73, s68, s35
	v_ashrrev_i32_e32 v25, 31, v14
	v_mov_b32_e32 v24, v14
	v_mad_u64_u32 v[26:27], s[0:1], s26, 3, v[24:25]
	s_add_u32 s74, s72, s34
	s_addc_u32 s75, s73, s35
	s_and_b32 s0, s10, -4
	s_add_i32 s0, s0, s30
	v_lshlrev_b64 v[4:5], 2, v[14:15]
	v_add_u32_e32 v12, s0, v14
	v_mov_b32_e32 v1, s9
	v_add_co_u32_e32 v20, vcc, s8, v4
	v_ashrrev_i32_e32 v13, 31, v12
	v_add_u32_e32 v27, s2, v27
	v_cmp_gt_u64_e64 s[2:3], s[30:31], v[14:15]
	v_addc_co_u32_e32 v21, vcc, v1, v5, vcc
	v_lshlrev_b64 v[4:5], 2, v[12:13]
	v_bfe_u32 v13, v0, 20, 10
	v_bfe_u32 v15, v0, 10, 10
	v_lshrrev_b32_e32 v0, 3, v28
	v_add_co_u32_e32 v18, vcc, s8, v4
	v_lshlrev_b32_e32 v32, 2, v28
	v_and_b32_e32 v0, 0x7c, v0
	v_addc_co_u32_e32 v19, vcc, v1, v5, vcc
	v_add_u32_e32 v29, v32, v0
	v_lshlrev_b32_e32 v0, 4, v28
	v_lshrrev_b32_e32 v1, 1, v28
	v_mov_b32_e32 v2, v31
	v_mov_b32_e32 v3, v14
	v_add_lshl_u32 v50, v1, v0, 2
	v_or_b32_e32 v0, s6, v28
	v_cmp_eq_u32_e64 s[10:11], 0, v0
	v_ashrrev_i64 v[0:1], 30, v[2:3]
	v_mov_b32_e32 v2, s21
	v_add_co_u32_e32 v22, vcc, s20, v0
	v_addc_co_u32_e32 v23, vcc, v2, v1, vcc
	v_cvt_f32_u32_e32 v1, s71
	s_add_i32 s76, s76, -1
	s_lshl_b32 s77, s71, 8
	v_add_co_u32_e32 v16, vcc, s20, v4
	v_rcp_iflag_f32_e32 v1, v1
	s_cmp_eq_u64 s[20:21], 0
	v_addc_co_u32_e32 v17, vcc, v2, v5, vcc
	v_mul_f32_e32 v1, 0x4f7ffffe, v1
	v_add_u32_e32 v0, s71, v28
	s_movk_i32 s6, 0x400
	v_cvt_u32_f32_e32 v1, v1
	s_cselect_b64 s[44:45], -1, 0
	s_cmp_lg_u64 s[20:21], 0
	v_mov_b32_e32 v3, s71
	v_cmp_gt_u32_e32 vcc, s6, v0
	v_cmp_gt_i32_e64 s[0:1], s7, v12
	s_cselect_b64 s[24:25], -1, 0
	v_max_u32_e32 v2, 0x400, v0
	v_addc_co_u32_e64 v0, s[6:7], v28, v3, vcc
	s_cmp_eq_u32 s71, 1
	s_cselect_b64 s[12:13], -1, 0
	s_sub_i32 s6, 0, s71
	v_sub_u32_e32 v0, v2, v0
	v_mul_lo_u32 v2, s6, v1
	v_mul_hi_u32 v2, v1, v2
	v_add_u32_e32 v1, v1, v2
	v_mul_hi_u32 v1, v0, v1
	v_mul_lo_u32 v2, v1, s71
	v_sub_u32_e32 v0, v0, v2
	v_add_u32_e32 v2, 1, v1
	v_cmp_le_u32_e64 s[6:7], s71, v0
	v_cndmask_b32_e64 v1, v1, v2, s[6:7]
	v_subrev_u32_e32 v2, s71, v0
	v_cndmask_b32_e64 v0, v0, v2, s[6:7]
	v_add_u32_e32 v2, 1, v1
	v_cmp_le_u32_e64 s[6:7], s71, v0
	v_cndmask_b32_e64 v0, v1, v2, s[6:7]
	v_addc_co_u32_e64 v1, s[6:7], 1, v0, vcc
	v_cmp_lt_u32_e64 s[6:7], 1, v1
	s_and_b64 s[46:47], s[6:7], s[12:13]
	s_lshl_b32 s78, s71, 1
	s_add_u32 s27, s20, 4
	v_addc_co_u32_e32 v0, vcc, -1, v0, vcc
	s_addc_u32 s31, s21, 0
	v_lshrrev_b32_e32 v3, 1, v0
	s_add_u32 s64, s20, 8
	v_add_u32_e32 v3, 1, v3
	v_cmp_lt_u32_e64 s[12:13], 13, v0
	s_addc_u32 s65, s21, 0
	v_mov_b32_e32 v0, s41
	v_add_co_u32_e32 v38, vcc, s40, v32
	s_mov_b64 s[8:9], src_shared_base
	v_and_b32_e32 v2, -2, v1
	v_and_b32_e32 v51, 7, v3
	s_add_u32 s66, s20, 12
	v_addc_co_u32_e32 v39, vcc, 0, v0, vcc
	v_mbcnt_lo_u32_b32 v0, -1, 0
	s_mul_i32 s70, s26, 3
	v_cmp_gt_u64_e64 s[4:5], s[28:29], v[26:27]
	v_add_u32_e32 v34, 0x1080, v32
	v_mov_b32_e32 v35, s9
	v_cmp_gt_u32_e64 s[8:9], 64, v28
	v_mad_u64_u32 v[36:37], s[6:7], v2, s71, v[28:29]
	v_and_b32_e32 v52, -8, v3
	v_cmp_ne_u32_e64 s[14:15], 0, v51
	v_cmp_ne_u32_e64 s[16:17], v1, v2
	s_addc_u32 s67, s21, 0
	s_lshl_b32 s79, s71, 6
	s_lshl_b32 s80, s71, 3
	;; [unrolled: 1-line block ×3, first 2 shown]
	v_mov_b32_e32 v33, v31
	s_mov_b32 s82, s43
	s_lshl_b32 s83, s71, 4
	s_mul_i32 s84, s71, 6
	s_mul_i32 s85, s71, 10
	;; [unrolled: 1-line block ×4, first 2 shown]
	v_add_u32_e32 v53, 0x107c, v32
	v_mov_b32_e32 v54, 0x2184
	s_movk_i32 s88, 0x3ff
	v_mov_b32_e32 v55, 1
	v_bfrev_b32_e32 v56, -2
	v_mbcnt_hi_u32_b32 v57, -1, v0
	v_mov_b32_e32 v58, 0x1080
	s_mov_b64 s[48:49], s[40:41]
	s_mov_b32 s89, 0
	s_branch .LBB14_18
.LBB14_16:                              ;   in Loop: Header=BB14_18 Depth=1
	s_mov_b64 s[6:7], -1
	s_mov_b64 s[50:51], -1
                                        ; implicit-def: $sgpr89
                                        ; implicit-def: $vgpr38_vgpr39
                                        ; implicit-def: $sgpr48_sgpr49
                                        ; implicit-def: $sgpr90
.LBB14_17:                              ;   in Loop: Header=BB14_18 Depth=1
	s_and_b64 vcc, exec, s[50:51]
	s_cbranch_vccnz .LBB14_517
.LBB14_18:                              ; =>This Loop Header: Depth=1
                                        ;     Child Loop BB14_22 Depth 2
                                        ;     Child Loop BB14_26 Depth 2
	;; [unrolled: 1-line block ×15, first 2 shown]
	s_waitcnt lgkmcnt(0)
	ds_read2_b32 v[40:41], v54 offset1:1
	s_waitcnt lgkmcnt(0)
	v_cmp_eq_u32_e32 vcc, 0, v41
	s_cbranch_vccnz .LBB14_16
; %bb.19:                               ;   in Loop: Header=BB14_18 Depth=1
	s_mov_b64 s[50:51], -1
	v_mov_b32_e32 v0, v28
	v_mov_b32_e32 v1, v32
	s_and_saveexec_b64 s[6:7], s[46:47]
	s_cbranch_execz .LBB14_30
; %bb.20:                               ;   in Loop: Header=BB14_18 Depth=1
	s_waitcnt vmcnt(0)
	v_mov_b32_e32 v2, 0
	s_and_saveexec_b64 s[50:51], s[12:13]
	s_cbranch_execz .LBB14_24
; %bb.21:                               ;   in Loop: Header=BB14_18 Depth=1
	s_mov_b32 s42, 0
	s_mov_b64 s[52:53], 0
	v_mov_b32_e32 v0, v52
	v_mov_b32_e32 v1, v34
.LBB14_22:                              ;   Parent Loop BB14_18 Depth=1
                                        ; =>  This Inner Loop Header: Depth=2
	v_add_u32_e32 v2, s80, v1
	v_add_u32_e32 v3, s80, v2
	ds_write2_b32 v1, v31, v31 offset1:1
	ds_write2_b32 v2, v31, v31 offset1:1
	;; [unrolled: 1-line block ×3, first 2 shown]
	v_add_u32_e32 v3, s80, v3
	ds_write2_b32 v3, v31, v31 offset1:1
	v_add_u32_e32 v3, s80, v3
	v_add_u32_e32 v0, -8, v0
	ds_write2_b32 v3, v31, v31 offset1:1
	v_add_u32_e32 v3, s80, v3
	s_add_i32 s42, s42, 16
	v_cmp_eq_u32_e32 vcc, 0, v0
	ds_write2_b32 v3, v31, v31 offset1:1
	v_add_u32_e32 v3, s80, v3
	v_add_u32_e32 v1, s79, v1
	v_mov_b32_e32 v2, s42
	s_or_b64 s[52:53], vcc, s[52:53]
	ds_write2_b32 v3, v31, v31 offset1:1
	v_add_u32_e32 v3, s80, v3
	ds_write2_b32 v3, v31, v31 offset1:1
	s_andn2_b64 exec, exec, s[52:53]
	s_cbranch_execnz .LBB14_22
; %bb.23:                               ;   in Loop: Header=BB14_18 Depth=1
	s_or_b64 exec, exec, s[52:53]
.LBB14_24:                              ;   in Loop: Header=BB14_18 Depth=1
	s_or_b64 exec, exec, s[50:51]
	s_and_saveexec_b64 s[50:51], s[14:15]
	s_cbranch_execz .LBB14_27
; %bb.25:                               ;   in Loop: Header=BB14_18 Depth=1
	v_mad_u64_u32 v[0:1], s[52:53], s81, v2, v[34:35]
	s_mov_b64 s[52:53], 0
	v_mov_b32_e32 v1, v51
.LBB14_26:                              ;   Parent Loop BB14_18 Depth=1
                                        ; =>  This Inner Loop Header: Depth=2
	v_add_u32_e32 v1, -1, v1
	v_cmp_eq_u32_e32 vcc, 0, v1
	ds_write2_b32 v0, v31, v31 offset1:1
	s_or_b64 s[52:53], vcc, s[52:53]
	v_add_u32_e32 v0, s80, v0
	s_andn2_b64 exec, exec, s[52:53]
	s_cbranch_execnz .LBB14_26
.LBB14_27:                              ;   in Loop: Header=BB14_18 Depth=1
	s_or_b64 exec, exec, s[50:51]
	s_mov_b64 s[50:51], 0
                                        ; implicit-def: $vgpr1
	s_and_saveexec_b64 s[52:53], s[16:17]
	s_xor_b64 s[52:53], exec, s[52:53]
; %bb.28:                               ;   in Loop: Header=BB14_18 Depth=1
	s_mov_b64 s[50:51], exec
	v_lshlrev_b32_e32 v1, 2, v36
; %bb.29:                               ;   in Loop: Header=BB14_18 Depth=1
	s_or_b64 exec, exec, s[52:53]
	s_orn2_b64 s[50:51], s[50:51], exec
	v_mov_b32_e32 v0, v36
.LBB14_30:                              ;   in Loop: Header=BB14_18 Depth=1
	s_or_b64 exec, exec, s[6:7]
	s_and_saveexec_b64 s[6:7], s[50:51]
	s_cbranch_execz .LBB14_33
; %bb.31:                               ;   in Loop: Header=BB14_18 Depth=1
	v_add_u32_e32 v1, 0x1080, v1
	s_mov_b64 s[50:51], 0
.LBB14_32:                              ;   Parent Loop BB14_18 Depth=1
                                        ; =>  This Inner Loop Header: Depth=2
	v_add_u32_e32 v0, s71, v0
	v_cmp_lt_u32_e32 vcc, s88, v0
	ds_write_b32 v1, v31
	s_or_b64 s[50:51], vcc, s[50:51]
	v_add_u32_e32 v1, s81, v1
	s_andn2_b64 exec, exec, s[50:51]
	s_cbranch_execnz .LBB14_32
.LBB14_33:                              ;   in Loop: Header=BB14_18 Depth=1
	s_or_b64 exec, exec, s[6:7]
	v_cmp_ne_u32_e32 vcc, v41, v40
	s_mul_i32 s90, s89, -10
	s_waitcnt lgkmcnt(0)
	s_barrier
	s_cbranch_vccz .LBB14_70
; %bb.34:                               ;   in Loop: Header=BB14_18 Depth=1
	s_max_i32 s56, s90, 0xffffffea
	s_add_i32 s56, s56, 22
	s_cmp_lg_u32 s89, 0
	s_cbranch_scc0 .LBB14_71
; %bb.35:                               ;   in Loop: Header=BB14_18 Depth=1
	ds_read_b32 v30, v31 offset:8576
	s_add_i32 s42, s90, 32
	v_mov_b32_e32 v42, v14
	s_and_saveexec_b64 s[6:7], s[4:5]
	s_cbranch_execz .LBB14_73
; %bb.36:                               ;   in Loop: Header=BB14_18 Depth=1
	s_lshl_b32 s54, -1, s42
	s_mov_b64 s[50:51], 0
	v_pk_mov_b32 v[8:9], v[26:27], v[26:27] op_sel:[0,1]
	v_pk_mov_b32 v[42:43], v[24:25], v[24:25] op_sel:[0,1]
	s_branch .LBB14_38
.LBB14_37:                              ;   in Loop: Header=BB14_38 Depth=2
	s_or_b64 exec, exec, s[52:53]
	v_add_u32_e32 v42, s63, v42
	v_ashrrev_i32_e32 v43, 31, v42
	v_mov_b32_e32 v0, s69
	v_add_co_u32_e32 v8, vcc, s70, v42
	v_addc_co_u32_e32 v9, vcc, v0, v43, vcc
	v_cmp_le_u64_e32 vcc, s[28:29], v[8:9]
	s_or_b64 s[50:51], vcc, s[50:51]
	s_andn2_b64 exec, exec, s[50:51]
	s_cbranch_execz .LBB14_72
.LBB14_38:                              ;   Parent Loop BB14_18 Depth=1
                                        ; =>  This Inner Loop Header: Depth=2
	v_lshlrev_b64 v[10:11], 4, v[42:43]
	v_mov_b32_e32 v1, s68
	v_add_co_u32_e32 v0, vcc, s62, v10
	v_addc_co_u32_e32 v1, vcc, v1, v11, vcc
	global_load_dwordx4 v[0:3], v[0:1], off
	v_mov_b32_e32 v5, s73
	v_add_co_u32_e32 v4, vcc, s72, v10
	v_addc_co_u32_e32 v5, vcc, v5, v11, vcc
	global_load_dwordx4 v[4:7], v[4:5], off
	s_waitcnt vmcnt(1)
	v_cmp_gt_i32_e32 vcc, 0, v0
	v_cndmask_b32_e64 v37, v56, 0, vcc
	v_xor_b32_e32 v0, v37, v0
	v_and_b32_e32 v37, s54, v0
	s_waitcnt lgkmcnt(0)
	v_cmp_eq_u32_e32 vcc, v37, v30
	s_and_saveexec_b64 s[52:53], vcc
	s_cbranch_execz .LBB14_40
; %bb.39:                               ;   in Loop: Header=BB14_38 Depth=2
	v_bfe_u32 v0, v0, s56, 10
	v_lshlrev_b32_e32 v0, 2, v0
	ds_add_u32 v0, v55 offset:4224
.LBB14_40:                              ;   in Loop: Header=BB14_38 Depth=2
	s_or_b64 exec, exec, s[52:53]
	v_cmp_gt_i32_e32 vcc, 0, v1
	v_cndmask_b32_e64 v0, v56, 0, vcc
	v_xor_b32_e32 v0, v0, v1
	v_and_b32_e32 v1, s54, v0
	v_cmp_eq_u32_e32 vcc, v1, v30
	s_and_saveexec_b64 s[52:53], vcc
	s_cbranch_execz .LBB14_42
; %bb.41:                               ;   in Loop: Header=BB14_38 Depth=2
	v_bfe_u32 v0, v0, s56, 10
	v_lshlrev_b32_e32 v0, 2, v0
	ds_add_u32 v0, v55 offset:4224
.LBB14_42:                              ;   in Loop: Header=BB14_38 Depth=2
	s_or_b64 exec, exec, s[52:53]
	v_cmp_gt_i32_e32 vcc, 0, v2
	v_cndmask_b32_e64 v0, v56, 0, vcc
	v_xor_b32_e32 v0, v0, v2
	v_and_b32_e32 v1, s54, v0
	;; [unrolled: 13-line block ×3, first 2 shown]
	v_cmp_eq_u32_e32 vcc, v1, v30
	s_and_saveexec_b64 s[52:53], vcc
	s_cbranch_execz .LBB14_46
; %bb.45:                               ;   in Loop: Header=BB14_38 Depth=2
	v_bfe_u32 v0, v0, s56, 10
	v_lshlrev_b32_e32 v0, 2, v0
	ds_add_u32 v0, v55 offset:4224
.LBB14_46:                              ;   in Loop: Header=BB14_38 Depth=2
	s_or_b64 exec, exec, s[52:53]
	v_mov_b32_e32 v1, s75
	v_add_co_u32_e32 v0, vcc, s74, v10
	v_addc_co_u32_e32 v1, vcc, v1, v11, vcc
	v_lshlrev_b64 v[2:3], 4, v[8:9]
	v_mov_b32_e32 v8, s68
	v_add_co_u32_e32 v2, vcc, s62, v2
	v_addc_co_u32_e32 v3, vcc, v8, v3, vcc
	global_load_dwordx4 v[8:11], v[0:1], off
	s_nop 0
	global_load_dwordx4 v[0:3], v[2:3], off
	s_waitcnt vmcnt(2)
	v_cmp_gt_i32_e32 vcc, 0, v4
	v_cndmask_b32_e64 v37, v56, 0, vcc
	v_xor_b32_e32 v4, v37, v4
	v_and_b32_e32 v37, s54, v4
	v_cmp_eq_u32_e32 vcc, v37, v30
	s_and_saveexec_b64 s[52:53], vcc
	s_cbranch_execz .LBB14_48
; %bb.47:                               ;   in Loop: Header=BB14_38 Depth=2
	v_bfe_u32 v4, v4, s56, 10
	v_lshlrev_b32_e32 v4, 2, v4
	ds_add_u32 v4, v55 offset:4224
.LBB14_48:                              ;   in Loop: Header=BB14_38 Depth=2
	s_or_b64 exec, exec, s[52:53]
	v_cmp_gt_i32_e32 vcc, 0, v5
	v_cndmask_b32_e64 v4, v56, 0, vcc
	v_xor_b32_e32 v4, v4, v5
	v_and_b32_e32 v5, s54, v4
	v_cmp_eq_u32_e32 vcc, v5, v30
	s_and_saveexec_b64 s[52:53], vcc
	s_cbranch_execz .LBB14_50
; %bb.49:                               ;   in Loop: Header=BB14_38 Depth=2
	v_bfe_u32 v4, v4, s56, 10
	v_lshlrev_b32_e32 v4, 2, v4
	ds_add_u32 v4, v55 offset:4224
.LBB14_50:                              ;   in Loop: Header=BB14_38 Depth=2
	s_or_b64 exec, exec, s[52:53]
	;; [unrolled: 13-line block ×4, first 2 shown]
	s_waitcnt vmcnt(1)
	v_cmp_gt_i32_e32 vcc, 0, v8
	v_cndmask_b32_e64 v4, v56, 0, vcc
	v_xor_b32_e32 v4, v4, v8
	v_and_b32_e32 v5, s54, v4
	v_cmp_eq_u32_e32 vcc, v5, v30
	s_and_saveexec_b64 s[52:53], vcc
	s_cbranch_execz .LBB14_56
; %bb.55:                               ;   in Loop: Header=BB14_38 Depth=2
	v_bfe_u32 v4, v4, s56, 10
	v_lshlrev_b32_e32 v4, 2, v4
	ds_add_u32 v4, v55 offset:4224
.LBB14_56:                              ;   in Loop: Header=BB14_38 Depth=2
	s_or_b64 exec, exec, s[52:53]
	v_cmp_gt_i32_e32 vcc, 0, v9
	v_cndmask_b32_e64 v4, v56, 0, vcc
	v_xor_b32_e32 v4, v4, v9
	v_and_b32_e32 v5, s54, v4
	v_cmp_eq_u32_e32 vcc, v5, v30
	s_and_saveexec_b64 s[52:53], vcc
	s_cbranch_execz .LBB14_58
; %bb.57:                               ;   in Loop: Header=BB14_38 Depth=2
	v_bfe_u32 v4, v4, s56, 10
	v_lshlrev_b32_e32 v4, 2, v4
	ds_add_u32 v4, v55 offset:4224
.LBB14_58:                              ;   in Loop: Header=BB14_38 Depth=2
	s_or_b64 exec, exec, s[52:53]
	;; [unrolled: 13-line block ×4, first 2 shown]
	s_waitcnt vmcnt(0)
	v_cmp_gt_i32_e32 vcc, 0, v0
	v_cndmask_b32_e64 v4, v56, 0, vcc
	v_xor_b32_e32 v0, v4, v0
	v_and_b32_e32 v4, s54, v0
	v_cmp_eq_u32_e32 vcc, v4, v30
	s_and_saveexec_b64 s[52:53], vcc
	s_cbranch_execz .LBB14_64
; %bb.63:                               ;   in Loop: Header=BB14_38 Depth=2
	v_bfe_u32 v0, v0, s56, 10
	v_lshlrev_b32_e32 v0, 2, v0
	ds_add_u32 v0, v55 offset:4224
.LBB14_64:                              ;   in Loop: Header=BB14_38 Depth=2
	s_or_b64 exec, exec, s[52:53]
	v_cmp_gt_i32_e32 vcc, 0, v1
	v_cndmask_b32_e64 v0, v56, 0, vcc
	v_xor_b32_e32 v0, v0, v1
	v_and_b32_e32 v1, s54, v0
	v_cmp_eq_u32_e32 vcc, v1, v30
	s_and_saveexec_b64 s[52:53], vcc
	s_cbranch_execz .LBB14_66
; %bb.65:                               ;   in Loop: Header=BB14_38 Depth=2
	v_bfe_u32 v0, v0, s56, 10
	v_lshlrev_b32_e32 v0, 2, v0
	ds_add_u32 v0, v55 offset:4224
.LBB14_66:                              ;   in Loop: Header=BB14_38 Depth=2
	s_or_b64 exec, exec, s[52:53]
	;; [unrolled: 13-line block ×3, first 2 shown]
	v_cmp_gt_i32_e32 vcc, 0, v3
	v_cndmask_b32_e64 v0, v56, 0, vcc
	v_xor_b32_e32 v0, v0, v3
	v_and_b32_e32 v1, s54, v0
	v_cmp_eq_u32_e32 vcc, v1, v30
	s_and_saveexec_b64 s[52:53], vcc
	s_cbranch_execz .LBB14_37
; %bb.69:                               ;   in Loop: Header=BB14_38 Depth=2
	v_bfe_u32 v0, v0, s56, 10
	v_lshlrev_b32_e32 v0, 2, v0
	ds_add_u32 v0, v55 offset:4224
	s_branch .LBB14_37
.LBB14_70:                              ;   in Loop: Header=BB14_18 Depth=1
	s_mov_b64 s[50:51], -1
	s_mov_b64 s[6:7], 0
                                        ; implicit-def: $sgpr89
                                        ; implicit-def: $vgpr38_vgpr39
                                        ; implicit-def: $sgpr48_sgpr49
	s_branch .LBB14_17
.LBB14_71:                              ;   in Loop: Header=BB14_18 Depth=1
	s_mov_b64 s[50:51], 0
                                        ; implicit-def: $vgpr0
	s_cbranch_execnz .LBB14_92
	s_branch .LBB14_104
.LBB14_72:                              ;   in Loop: Header=BB14_18 Depth=1
	s_or_b64 exec, exec, s[50:51]
.LBB14_73:                              ;   in Loop: Header=BB14_18 Depth=1
	s_or_b64 exec, exec, s[6:7]
	v_cmp_gt_i32_e32 vcc, s28, v42
	s_and_saveexec_b64 s[6:7], vcc
	s_cbranch_execz .LBB14_84
; %bb.74:                               ;   in Loop: Header=BB14_18 Depth=1
	s_lshl_b32 s54, -1, s42
	s_mov_b64 s[50:51], 0
	s_branch .LBB14_76
.LBB14_75:                              ;   in Loop: Header=BB14_76 Depth=2
	s_or_b64 exec, exec, s[52:53]
	v_add_u32_e32 v42, s26, v42
	v_cmp_le_i32_e32 vcc, s28, v42
	s_or_b64 s[50:51], vcc, s[50:51]
	s_andn2_b64 exec, exec, s[50:51]
	s_cbranch_execz .LBB14_84
.LBB14_76:                              ;   Parent Loop BB14_18 Depth=1
                                        ; =>  This Inner Loop Header: Depth=2
	v_ashrrev_i32_e32 v43, 31, v42
	v_lshlrev_b64 v[0:1], 4, v[42:43]
	s_waitcnt vmcnt(0)
	v_mov_b32_e32 v2, s68
	v_add_co_u32_e32 v0, vcc, s62, v0
	v_addc_co_u32_e32 v1, vcc, v2, v1, vcc
	global_load_dwordx4 v[0:3], v[0:1], off
	s_waitcnt vmcnt(0)
	v_cmp_gt_i32_e32 vcc, 0, v0
	v_cndmask_b32_e64 v4, v56, 0, vcc
	v_xor_b32_e32 v0, v4, v0
	v_and_b32_e32 v4, s54, v0
	s_waitcnt lgkmcnt(0)
	v_cmp_eq_u32_e32 vcc, v4, v30
	s_and_saveexec_b64 s[52:53], vcc
	s_cbranch_execz .LBB14_78
; %bb.77:                               ;   in Loop: Header=BB14_76 Depth=2
	v_bfe_u32 v0, v0, s56, 10
	v_lshlrev_b32_e32 v0, 2, v0
	ds_add_u32 v0, v55 offset:4224
.LBB14_78:                              ;   in Loop: Header=BB14_76 Depth=2
	s_or_b64 exec, exec, s[52:53]
	v_cmp_gt_i32_e32 vcc, 0, v1
	v_cndmask_b32_e64 v0, v56, 0, vcc
	v_xor_b32_e32 v0, v0, v1
	v_and_b32_e32 v1, s54, v0
	v_cmp_eq_u32_e32 vcc, v1, v30
	s_and_saveexec_b64 s[52:53], vcc
	s_cbranch_execz .LBB14_80
; %bb.79:                               ;   in Loop: Header=BB14_76 Depth=2
	v_bfe_u32 v0, v0, s56, 10
	v_lshlrev_b32_e32 v0, 2, v0
	ds_add_u32 v0, v55 offset:4224
.LBB14_80:                              ;   in Loop: Header=BB14_76 Depth=2
	s_or_b64 exec, exec, s[52:53]
	v_cmp_gt_i32_e32 vcc, 0, v2
	v_cndmask_b32_e64 v0, v56, 0, vcc
	v_xor_b32_e32 v0, v0, v2
	v_and_b32_e32 v1, s54, v0
	;; [unrolled: 13-line block ×3, first 2 shown]
	v_cmp_eq_u32_e32 vcc, v1, v30
	s_and_saveexec_b64 s[52:53], vcc
	s_cbranch_execz .LBB14_75
; %bb.83:                               ;   in Loop: Header=BB14_76 Depth=2
	v_bfe_u32 v0, v0, s56, 10
	v_lshlrev_b32_e32 v0, 2, v0
	ds_add_u32 v0, v55 offset:4224
	s_branch .LBB14_75
.LBB14_84:                              ;   in Loop: Header=BB14_18 Depth=1
	s_or_b64 exec, exec, s[6:7]
	s_and_saveexec_b64 s[6:7], s[2:3]
	s_cbranch_execz .LBB14_87
; %bb.85:                               ;   in Loop: Header=BB14_18 Depth=1
	global_load_dword v0, v[20:21], off
	s_lshl_b32 s50, -1, s42
	s_waitcnt vmcnt(0)
	v_cmp_gt_i32_e32 vcc, 0, v0
	v_cndmask_b32_e64 v1, v56, 0, vcc
	v_xor_b32_e32 v0, v1, v0
	v_and_b32_e32 v1, s50, v0
	s_waitcnt lgkmcnt(0)
	v_cmp_eq_u32_e32 vcc, v1, v30
	s_and_b64 exec, exec, vcc
	s_cbranch_execz .LBB14_87
; %bb.86:                               ;   in Loop: Header=BB14_18 Depth=1
	v_bfe_u32 v0, v0, s56, 10
	v_lshlrev_b32_e32 v0, 2, v0
	ds_add_u32 v0, v55 offset:4224
.LBB14_87:                              ;   in Loop: Header=BB14_18 Depth=1
	s_or_b64 exec, exec, s[6:7]
	s_mov_b64 s[6:7], 0
	s_mov_b64 s[50:51], 0
                                        ; implicit-def: $vgpr0
	s_and_saveexec_b64 s[52:53], s[0:1]
	s_cbranch_execz .LBB14_91
; %bb.88:                               ;   in Loop: Header=BB14_18 Depth=1
	global_load_dword v0, v[18:19], off
	s_lshl_b32 s42, -1, s42
	s_waitcnt vmcnt(0)
	v_cmp_gt_i32_e32 vcc, 0, v0
	v_cndmask_b32_e64 v1, v56, 0, vcc
	v_xor_b32_e32 v1, v1, v0
	v_and_b32_e32 v0, s42, v1
	s_waitcnt lgkmcnt(0)
	v_cmp_eq_u32_e32 vcc, v0, v30
                                        ; implicit-def: $vgpr0
	s_and_saveexec_b64 s[54:55], vcc
	s_xor_b64 s[54:55], exec, s[54:55]
; %bb.89:                               ;   in Loop: Header=BB14_18 Depth=1
	s_mov_b64 s[50:51], exec
	v_bfe_u32 v0, v1, s56, 10
; %bb.90:                               ;   in Loop: Header=BB14_18 Depth=1
	s_or_b64 exec, exec, s[54:55]
	s_and_b64 s[50:51], s[50:51], exec
.LBB14_91:                              ;   in Loop: Header=BB14_18 Depth=1
	s_or_b64 exec, exec, s[52:53]
	s_and_b64 vcc, exec, s[6:7]
	s_cbranch_vccz .LBB14_104
.LBB14_92:                              ;   in Loop: Header=BB14_18 Depth=1
	v_mov_b32_e32 v8, v14
	s_and_saveexec_b64 s[52:53], s[4:5]
	s_cbranch_execz .LBB14_96
; %bb.93:                               ;   in Loop: Header=BB14_18 Depth=1
	s_mov_b64 s[54:55], 0
	v_pk_mov_b32 v[10:11], v[26:27], v[26:27] op_sel:[0,1]
	v_pk_mov_b32 v[8:9], v[24:25], v[24:25] op_sel:[0,1]
.LBB14_94:                              ;   Parent Loop BB14_18 Depth=1
                                        ; =>  This Inner Loop Header: Depth=2
	v_lshlrev_b64 v[4:5], 4, v[8:9]
	v_mov_b32_e32 v9, s68
	v_add_co_u32_e32 v0, vcc, s62, v4
	v_addc_co_u32_e32 v1, vcc, v9, v5, vcc
	global_load_dwordx4 v[0:3], v[0:1], off
	s_waitcnt lgkmcnt(0)
	v_mov_b32_e32 v30, s73
	s_waitcnt vmcnt(1)
	v_lshlrev_b64 v[6:7], 4, v[10:11]
	v_add_co_u32_e32 v10, vcc, s72, v4
	v_addc_co_u32_e32 v11, vcc, v30, v5, vcc
	global_load_dwordx4 v[42:45], v[10:11], off
	v_mov_b32_e32 v37, s75
	v_add_co_u32_e32 v4, vcc, s74, v4
	v_addc_co_u32_e32 v5, vcc, v37, v5, vcc
	v_add_co_u32_e32 v46, vcc, s62, v6
	v_addc_co_u32_e32 v47, vcc, v9, v7, vcc
	v_add_u32_e32 v8, s63, v8
	v_mov_b32_e32 v11, s69
	s_waitcnt vmcnt(1)
	v_cmp_gt_i32_e32 vcc, 0, v0
	v_cndmask_b32_e64 v6, v56, 0, vcc
	v_cmp_gt_i32_e32 vcc, 0, v1
	v_cndmask_b32_e64 v7, v56, 0, vcc
	;; [unrolled: 2-line block ×4, first 2 shown]
	v_xor_b32_e32 v0, v6, v0
	v_xor_b32_e32 v1, v7, v1
	;; [unrolled: 1-line block ×4, first 2 shown]
	v_bfe_u32 v0, v0, s56, 10
	v_bfe_u32 v1, v1, s56, 10
	;; [unrolled: 1-line block ×4, first 2 shown]
	v_lshlrev_b32_e32 v0, 2, v0
	v_lshlrev_b32_e32 v1, 2, v1
	;; [unrolled: 1-line block ×4, first 2 shown]
	ds_add_u32 v0, v55 offset:4224
	ds_add_u32 v1, v55 offset:4224
	;; [unrolled: 1-line block ×4, first 2 shown]
	global_load_dwordx4 v[4:7], v[4:5], off
	s_nop 0
	global_load_dwordx4 v[0:3], v[46:47], off
	s_waitcnt vmcnt(2)
	v_cmp_gt_i32_e64 s[6:7], 0, v42
	v_cndmask_b32_e64 v30, v56, 0, s[6:7]
	v_cmp_gt_i32_e64 s[6:7], 0, v43
	v_cndmask_b32_e64 v37, v56, 0, s[6:7]
	;; [unrolled: 2-line block ×4, first 2 shown]
	v_xor_b32_e32 v30, v30, v42
	v_xor_b32_e32 v37, v37, v43
	;; [unrolled: 1-line block ×4, first 2 shown]
	v_bfe_u32 v30, v30, s56, 10
	v_bfe_u32 v37, v37, s56, 10
	;; [unrolled: 1-line block ×4, first 2 shown]
	v_lshlrev_b32_e32 v30, 2, v30
	v_lshlrev_b32_e32 v37, 2, v37
	;; [unrolled: 1-line block ×4, first 2 shown]
	ds_add_u32 v30, v55 offset:4224
	ds_add_u32 v37, v55 offset:4224
	;; [unrolled: 1-line block ×4, first 2 shown]
	v_ashrrev_i32_e32 v9, 31, v8
	v_add_co_u32_e32 v10, vcc, s70, v8
	v_addc_co_u32_e32 v11, vcc, v11, v9, vcc
	v_cmp_le_u64_e32 vcc, s[28:29], v[10:11]
	s_or_b64 s[54:55], vcc, s[54:55]
	s_waitcnt vmcnt(1)
	v_cmp_gt_i32_e64 s[6:7], 0, v4
	v_cndmask_b32_e64 v30, v56, 0, s[6:7]
	v_cmp_gt_i32_e64 s[6:7], 0, v5
	v_cndmask_b32_e64 v37, v56, 0, s[6:7]
	;; [unrolled: 2-line block ×4, first 2 shown]
	s_waitcnt vmcnt(0)
	v_cmp_gt_i32_e64 s[6:7], 0, v0
	v_cndmask_b32_e64 v43, v56, 0, s[6:7]
	v_cmp_gt_i32_e64 s[6:7], 0, v1
	v_cndmask_b32_e64 v44, v56, 0, s[6:7]
	;; [unrolled: 2-line block ×4, first 2 shown]
	v_xor_b32_e32 v4, v30, v4
	v_xor_b32_e32 v5, v37, v5
	;; [unrolled: 1-line block ×8, first 2 shown]
	v_bfe_u32 v4, v4, s56, 10
	v_bfe_u32 v5, v5, s56, 10
	;; [unrolled: 1-line block ×8, first 2 shown]
	v_lshlrev_b32_e32 v4, 2, v4
	v_lshlrev_b32_e32 v5, 2, v5
	;; [unrolled: 1-line block ×8, first 2 shown]
	ds_add_u32 v4, v55 offset:4224
	ds_add_u32 v5, v55 offset:4224
	;; [unrolled: 1-line block ×8, first 2 shown]
	s_andn2_b64 exec, exec, s[54:55]
	s_cbranch_execnz .LBB14_94
; %bb.95:                               ;   in Loop: Header=BB14_18 Depth=1
	s_or_b64 exec, exec, s[54:55]
.LBB14_96:                              ;   in Loop: Header=BB14_18 Depth=1
	s_or_b64 exec, exec, s[52:53]
	v_cmp_gt_i32_e32 vcc, s28, v8
	s_and_saveexec_b64 s[6:7], vcc
	s_cbranch_execz .LBB14_99
; %bb.97:                               ;   in Loop: Header=BB14_18 Depth=1
	s_mov_b64 s[52:53], 0
.LBB14_98:                              ;   Parent Loop BB14_18 Depth=1
                                        ; =>  This Inner Loop Header: Depth=2
	v_ashrrev_i32_e32 v9, 31, v8
	v_lshlrev_b64 v[0:1], 4, v[8:9]
	s_waitcnt vmcnt(0)
	v_mov_b32_e32 v2, s68
	v_add_co_u32_e32 v0, vcc, s62, v0
	v_addc_co_u32_e32 v1, vcc, v2, v1, vcc
	global_load_dwordx4 v[0:3], v[0:1], off
	v_add_u32_e32 v8, s26, v8
	s_waitcnt vmcnt(0)
	v_cmp_gt_i32_e32 vcc, 0, v0
	v_cndmask_b32_e64 v4, v56, 0, vcc
	v_cmp_gt_i32_e32 vcc, 0, v1
	v_cndmask_b32_e64 v5, v56, 0, vcc
	v_cmp_gt_i32_e32 vcc, 0, v2
	v_cndmask_b32_e64 v6, v56, 0, vcc
	v_cmp_gt_i32_e32 vcc, 0, v3
	v_xor_b32_e32 v0, v4, v0
	v_cndmask_b32_e64 v7, v56, 0, vcc
	v_xor_b32_e32 v1, v5, v1
	v_xor_b32_e32 v2, v6, v2
	v_bfe_u32 v0, v0, s56, 10
	v_xor_b32_e32 v3, v7, v3
	v_bfe_u32 v1, v1, s56, 10
	v_bfe_u32 v2, v2, s56, 10
	v_lshlrev_b32_e32 v0, 2, v0
	v_bfe_u32 v3, v3, s56, 10
	v_lshlrev_b32_e32 v1, 2, v1
	v_lshlrev_b32_e32 v2, 2, v2
	ds_add_u32 v0, v55 offset:4224
	ds_add_u32 v1, v55 offset:4224
	;; [unrolled: 1-line block ×3, first 2 shown]
	v_lshlrev_b32_e32 v0, 2, v3
	ds_add_u32 v0, v55 offset:4224
	v_cmp_le_i32_e32 vcc, s28, v8
	s_or_b64 s[52:53], vcc, s[52:53]
	s_andn2_b64 exec, exec, s[52:53]
	s_cbranch_execnz .LBB14_98
.LBB14_99:                              ;   in Loop: Header=BB14_18 Depth=1
	s_or_b64 exec, exec, s[6:7]
	s_and_saveexec_b64 s[6:7], s[2:3]
	s_cbranch_execz .LBB14_101
; %bb.100:                              ;   in Loop: Header=BB14_18 Depth=1
	global_load_dword v0, v[20:21], off
	s_waitcnt vmcnt(0)
	v_cmp_gt_i32_e32 vcc, 0, v0
	v_cndmask_b32_e64 v1, v56, 0, vcc
	v_xor_b32_e32 v0, v1, v0
	v_bfe_u32 v0, v0, s56, 10
	v_lshlrev_b32_e32 v0, 2, v0
	ds_add_u32 v0, v55 offset:4224
.LBB14_101:                             ;   in Loop: Header=BB14_18 Depth=1
	s_or_b64 exec, exec, s[6:7]
                                        ; implicit-def: $vgpr0
	s_and_saveexec_b64 s[6:7], s[0:1]
	s_cbranch_execz .LBB14_103
; %bb.102:                              ;   in Loop: Header=BB14_18 Depth=1
	global_load_dword v0, v[18:19], off
	s_or_b64 s[50:51], s[50:51], exec
	s_waitcnt vmcnt(0)
	v_cmp_gt_i32_e32 vcc, 0, v0
	v_cndmask_b32_e64 v1, v56, 0, vcc
	v_xor_b32_e32 v0, v1, v0
	v_bfe_u32 v0, v0, s56, 10
.LBB14_103:                             ;   in Loop: Header=BB14_18 Depth=1
	s_or_b64 exec, exec, s[6:7]
.LBB14_104:                             ;   in Loop: Header=BB14_18 Depth=1
	s_and_saveexec_b64 s[6:7], s[50:51]
	s_cbranch_execz .LBB14_106
; %bb.105:                              ;   in Loop: Header=BB14_18 Depth=1
	v_lshlrev_b32_e32 v0, 2, v0
	ds_add_u32 v0, v55 offset:4224
.LBB14_106:                             ;   in Loop: Header=BB14_18 Depth=1
	s_or_b64 exec, exec, s[6:7]
	s_mov_b64 s[6:7], 0
	s_waitcnt vmcnt(0)
	v_mov_b32_e32 v2, v34
	v_pk_mov_b32 v[0:1], v[38:39], v[38:39] op_sel:[0,1]
	v_mov_b32_e32 v3, v28
	s_waitcnt lgkmcnt(0)
	s_barrier
	s_branch .LBB14_108
.LBB14_107:                             ;   in Loop: Header=BB14_108 Depth=2
	s_or_b64 exec, exec, s[50:51]
	v_mov_b32_e32 v4, s82
	v_add_co_u32_e32 v0, vcc, s81, v0
	v_add_u32_e32 v3, s71, v3
	v_addc_co_u32_e32 v1, vcc, v1, v4, vcc
	v_cmp_lt_u32_e32 vcc, s88, v3
	s_or_b64 s[6:7], vcc, s[6:7]
	v_add_u32_e32 v2, s81, v2
	s_andn2_b64 exec, exec, s[6:7]
	s_cbranch_execz .LBB14_110
.LBB14_108:                             ;   Parent Loop BB14_18 Depth=1
                                        ; =>  This Inner Loop Header: Depth=2
	ds_read_b32 v4, v2
	s_waitcnt lgkmcnt(0)
	v_cmp_ne_u32_e32 vcc, 0, v4
	s_and_saveexec_b64 s[50:51], vcc
	s_cbranch_execz .LBB14_107
; %bb.109:                              ;   in Loop: Header=BB14_108 Depth=2
	global_atomic_add v[0:1], v4, off
	s_branch .LBB14_107
.LBB14_110:                             ;   in Loop: Header=BB14_18 Depth=1
	s_or_b64 exec, exec, s[6:7]
	s_mov_b64 s[6:7], 0
	s_barrier
	s_and_saveexec_b64 s[50:51], s[18:19]
	s_cbranch_execz .LBB14_112
; %bb.111:                              ;   in Loop: Header=BB14_18 Depth=1
	v_mov_b32_e32 v0, s76
	global_atomic_inc v0, v31, v0, s[22:23] offset:256 glc
	s_waitcnt vmcnt(0)
	v_cmp_eq_u32_e32 vcc, s76, v0
	s_and_b64 s[6:7], vcc, exec
.LBB14_112:                             ;   in Loop: Header=BB14_18 Depth=1
	s_or_b64 exec, exec, s[50:51]
	global_load_dword v0, v31, s[38:39] offset:14
	v_cndmask_b32_e64 v1, 0, 1, s[6:7]
	s_waitcnt vmcnt(0)
	v_readfirstlane_b32 s6, v0
	v_or_b32_dpp v1, v1, v1 row_shl:1 row_mask:0xf bank_mask:0xf bound_ctrl:1
	s_lshr_b32 s50, s6, 16
	s_and_b32 s6, s6, 0xffff
	v_or_b32_dpp v1, v1, v1 row_shl:2 row_mask:0xf bank_mask:0xf bound_ctrl:1
	s_mul_i32 s51, s77, s6
	s_ashr_i32 s51, s51, 8
	v_or_b32_dpp v1, v1, v1 row_shl:4 row_mask:0xf bank_mask:0xf bound_ctrl:1
	s_mul_i32 s50, s51, s50
	s_add_i32 s50, s50, 63
	v_or_b32_dpp v1, v1, v1 row_shl:8 row_mask:0xf bank_mask:0xf bound_ctrl:1
	s_bitcmp1_b32 exec_hi, 0
	s_nop 0
	v_mov_b32_dpp v2, v1 wave_shl:1 row_mask:0xf bank_mask:0xf bound_ctrl:1
	s_nop 1
	v_or_b32_dpp v1, v2, v1 row_mirror row_mask:0xf bank_mask:0xf bound_ctrl:1
	v_readlane_b32 s7, v1, 32
	v_readlane_b32 s42, v1, 0
	s_cselect_b32 s7, s7, 0
	s_or_b32 s42, s7, s42
	s_andn2_b32 s50, s50, 63
	s_cmp_eq_u32 s50, 64
	v_mov_b32_e32 v0, s42
	s_cbranch_scc1 .LBB14_119
; %bb.113:                              ;   in Loop: Header=BB14_18 Depth=1
	v_mad_u32_u24 v0, v13, s6, v15
	v_mad_u64_u32 v[0:1], s[6:7], v0, s71, v[28:29]
	v_lshrrev_b32_e32 v1, 6, v0
	v_or_b32_e32 v1, v57, v1
	v_cmp_eq_u32_e32 vcc, 0, v1
	s_and_saveexec_b64 s[6:7], vcc
	s_cbranch_execz .LBB14_115
; %bb.114:                              ;   in Loop: Header=BB14_18 Depth=1
	v_mov_b32_e32 v1, s42
	ds_write_b32 v31, v1 offset:8320
.LBB14_115:                             ;   in Loop: Header=BB14_18 Depth=1
	s_or_b64 exec, exec, s[6:7]
	v_cmp_eq_u32_e32 vcc, 0, v57
	v_cmp_lt_u32_e64 s[6:7], 63, v0
	s_and_b64 s[50:51], s[6:7], vcc
	s_waitcnt lgkmcnt(0)
	s_barrier
	s_and_saveexec_b64 s[6:7], s[50:51]
	s_cbranch_execz .LBB14_118
; %bb.116:                              ;   in Loop: Header=BB14_18 Depth=1
	v_mbcnt_lo_u32_b32 v0, exec_lo, 0
	v_mbcnt_hi_u32_b32 v0, exec_hi, v0
	v_cmp_eq_u32_e32 vcc, 0, v0
	s_and_b64 exec, exec, vcc
	s_cbranch_execz .LBB14_118
; %bb.117:                              ;   in Loop: Header=BB14_18 Depth=1
	v_mov_b32_e32 v0, s42
	ds_or_b32 v31, v0 offset:8320
.LBB14_118:                             ;   in Loop: Header=BB14_18 Depth=1
	s_or_b64 exec, exec, s[6:7]
	s_waitcnt lgkmcnt(0)
	s_barrier
	ds_read_b32 v0, v31 offset:8320
	s_waitcnt lgkmcnt(0)
	s_barrier
.LBB14_119:                             ;   in Loop: Header=BB14_18 Depth=1
	v_cmp_eq_u32_e32 vcc, 0, v0
	s_cbranch_vccnz .LBB14_123
; %bb.120:                              ;   in Loop: Header=BB14_18 Depth=1
	s_and_saveexec_b64 s[6:7], s[18:19]
	s_cbranch_execz .LBB14_122
; %bb.121:                              ;   in Loop: Header=BB14_18 Depth=1
	s_add_i32 s42, s89, 1
	v_pk_mov_b32 v[0:1], s[22:23], s[22:23] op_sel:[0,1]
	v_mov_b32_e32 v2, s42
	buffer_wbl2
	flat_store_dword v[0:1], v2 offset:640
.LBB14_122:                             ;   in Loop: Header=BB14_18 Depth=1
	s_or_b64 exec, exec, s[6:7]
	s_cbranch_execz .LBB14_124
	s_branch .LBB14_129
.LBB14_123:                             ;   in Loop: Header=BB14_18 Depth=1
.LBB14_124:                             ;   in Loop: Header=BB14_18 Depth=1
	s_and_saveexec_b64 s[6:7], s[18:19]
	s_cbranch_execz .LBB14_128
; %bb.125:                              ;   in Loop: Header=BB14_18 Depth=1
	v_pk_mov_b32 v[0:1], s[22:23], s[22:23] op_sel:[0,1]
	flat_load_dword v0, v[0:1] offset:640 glc
	s_waitcnt vmcnt(0) lgkmcnt(0)
	buffer_invl2
	buffer_wbinvl1_vol
	v_cmp_ge_u32_e32 vcc, s89, v0
	s_and_b64 exec, exec, vcc
	s_cbranch_execz .LBB14_128
; %bb.126:                              ;   in Loop: Header=BB14_18 Depth=1
	s_mov_b64 s[50:51], 0
.LBB14_127:                             ;   Parent Loop BB14_18 Depth=1
                                        ; =>  This Inner Loop Header: Depth=2
	v_pk_mov_b32 v[0:1], s[22:23], s[22:23] op_sel:[0,1]
	s_sleep 1
	flat_load_dword v0, v[0:1] offset:640 glc
	s_waitcnt vmcnt(0) lgkmcnt(0)
	buffer_invl2
	buffer_wbinvl1_vol
	v_readfirstlane_b32 s42, v0
	s_cmp_gt_u32 s42, s89
	s_cselect_b64 s[52:53], -1, 0
	s_and_b64 s[52:53], exec, s[52:53]
	s_or_b64 s[50:51], s[52:53], s[50:51]
	s_andn2_b64 exec, exec, s[50:51]
	s_cbranch_execnz .LBB14_127
.LBB14_128:                             ;   in Loop: Header=BB14_18 Depth=1
	s_or_b64 exec, exec, s[6:7]
	s_waitcnt lgkmcnt(0)
	s_barrier
.LBB14_129:                             ;   in Loop: Header=BB14_18 Depth=1
	s_mov_b64 s[50:51], -1
	v_mov_b32_e32 v2, v28
	v_pk_mov_b32 v[0:1], v[32:33], v[32:33] op_sel:[0,1]
	v_mov_b32_e32 v3, v32
	s_and_saveexec_b64 s[6:7], s[46:47]
	s_cbranch_execz .LBB14_140
; %bb.130:                              ;   in Loop: Header=BB14_18 Depth=1
	s_lshl_b32 s42, s89, 10
	s_lshl_b64 s[50:51], s[42:43], 2
	s_add_u32 s42, s40, s50
	s_addc_u32 s54, s41, s51
	v_mov_b32_e32 v2, 0
	s_and_saveexec_b64 s[50:51], s[12:13]
	s_cbranch_execz .LBB14_134
; %bb.131:                              ;   in Loop: Header=BB14_18 Depth=1
	s_mov_b32 s55, 0
	s_mov_b64 s[52:53], 0
	v_mov_b32_e32 v0, v52
	v_mov_b32_e32 v1, v34
	;; [unrolled: 1-line block ×3, first 2 shown]
.LBB14_132:                             ;   Parent Loop BB14_18 Depth=1
                                        ; =>  This Inner Loop Header: Depth=2
	v_lshlrev_b64 v[2:3], 2, v[30:31]
	v_mov_b32_e32 v37, s54
	v_add_u32_e32 v4, s78, v30
	v_mov_b32_e32 v5, v31
	v_add_co_u32_e32 v2, vcc, s42, v2
	v_addc_co_u32_e32 v3, vcc, v37, v3, vcc
	v_lshlrev_b64 v[4:5], 2, v[4:5]
	v_add_u32_e32 v6, s81, v30
	v_mov_b32_e32 v7, v31
	global_load_dwordx2 v[48:49], v[2:3], off
	v_add_co_u32_e32 v2, vcc, s42, v4
	v_lshlrev_b64 v[6:7], 2, v[6:7]
	v_addc_co_u32_e32 v3, vcc, v37, v5, vcc
	v_add_u32_e32 v8, s84, v30
	v_mov_b32_e32 v9, v31
	v_add_co_u32_e32 v4, vcc, s42, v6
	v_lshlrev_b64 v[8:9], 2, v[8:9]
	v_addc_co_u32_e32 v5, vcc, v37, v7, vcc
	v_add_u32_e32 v10, s80, v30
	v_mov_b32_e32 v11, v31
	;; [unrolled: 5-line block ×5, first 2 shown]
	v_add_co_u32_e32 v42, vcc, s42, v44
	v_lshlrev_b64 v[46:47], 2, v[46:47]
	v_addc_co_u32_e32 v43, vcc, v37, v45, vcc
	v_add_co_u32_e32 v44, vcc, s42, v46
	v_addc_co_u32_e32 v45, vcc, v37, v47, vcc
	global_load_dwordx2 v[46:47], v[2:3], off
	s_nop 0
	global_load_dwordx2 v[4:5], v[4:5], off
	s_nop 0
	;; [unrolled: 2-line block ×6, first 2 shown]
	global_load_dwordx2 v[44:45], v[44:45], off
	v_add_u32_e32 v3, s80, v1
	v_add_u32_e32 v37, s80, v3
	;; [unrolled: 1-line block ×3, first 2 shown]
	v_add_u32_e32 v0, -8, v0
	v_add_u32_e32 v59, s80, v41
	s_add_i32 s55, s55, 16
	v_cmp_eq_u32_e32 vcc, 0, v0
	v_add_u32_e32 v60, s80, v59
	v_add_u32_e32 v30, s83, v30
	v_mov_b32_e32 v2, s55
	s_or_b64 s[52:53], vcc, s[52:53]
	v_add_u32_e32 v61, s80, v60
	v_add_u32_e32 v62, s80, v61
	s_waitcnt vmcnt(0)
	ds_write2_b32 v1, v48, v49 offset1:1
	v_add_u32_e32 v1, s79, v1
	ds_write2_b32 v3, v46, v47 offset1:1
	ds_write2_b32 v37, v4, v5 offset1:1
	;; [unrolled: 1-line block ×7, first 2 shown]
	s_andn2_b64 exec, exec, s[52:53]
	s_cbranch_execnz .LBB14_132
; %bb.133:                              ;   in Loop: Header=BB14_18 Depth=1
	s_or_b64 exec, exec, s[52:53]
.LBB14_134:                             ;   in Loop: Header=BB14_18 Depth=1
	s_or_b64 exec, exec, s[50:51]
	s_and_saveexec_b64 s[50:51], s[14:15]
	s_cbranch_execz .LBB14_137
; %bb.135:                              ;   in Loop: Header=BB14_18 Depth=1
	v_add_u32_e32 v30, v28, v2
	v_lshl_add_u32 v0, v30, 2, v58
	s_mov_b64 s[52:53], 0
	v_mov_b32_e32 v1, v51
.LBB14_136:                             ;   Parent Loop BB14_18 Depth=1
                                        ; =>  This Inner Loop Header: Depth=2
	v_lshlrev_b64 v[2:3], 2, v[30:31]
	v_mov_b32_e32 v4, s54
	v_add_co_u32_e32 v2, vcc, s42, v2
	v_addc_co_u32_e32 v3, vcc, v4, v3, vcc
	global_load_dwordx2 v[2:3], v[2:3], off
	v_add_u32_e32 v1, -1, v1
	v_cmp_eq_u32_e32 vcc, 0, v1
	v_add_u32_e32 v30, s78, v30
	s_or_b64 s[52:53], vcc, s[52:53]
	s_waitcnt vmcnt(0)
	ds_write2_b32 v0, v2, v3 offset1:1
	v_add_u32_e32 v0, s80, v0
	s_andn2_b64 exec, exec, s[52:53]
	s_cbranch_execnz .LBB14_136
.LBB14_137:                             ;   in Loop: Header=BB14_18 Depth=1
	s_or_b64 exec, exec, s[50:51]
	s_mov_b64 s[50:51], 0
                                        ; implicit-def: $vgpr0_vgpr1
                                        ; implicit-def: $vgpr3
	s_and_saveexec_b64 s[52:53], s[16:17]
	s_xor_b64 s[52:53], exec, s[52:53]
; %bb.138:                              ;   in Loop: Header=BB14_18 Depth=1
	v_mov_b32_e32 v37, v31
	s_mov_b64 s[50:51], exec
	v_lshlrev_b64 v[0:1], 2, v[36:37]
	v_lshlrev_b32_e32 v3, 2, v36
; %bb.139:                              ;   in Loop: Header=BB14_18 Depth=1
	s_or_b64 exec, exec, s[52:53]
	s_orn2_b64 s[50:51], s[50:51], exec
	v_mov_b32_e32 v2, v36
.LBB14_140:                             ;   in Loop: Header=BB14_18 Depth=1
	s_or_b64 exec, exec, s[6:7]
	s_and_saveexec_b64 s[6:7], s[50:51]
	s_cbranch_execz .LBB14_143
; %bb.141:                              ;   in Loop: Header=BB14_18 Depth=1
	v_mov_b32_e32 v4, s49
	v_add_co_u32_e32 v0, vcc, s48, v0
	v_addc_co_u32_e32 v1, vcc, v4, v1, vcc
	v_add_u32_e32 v3, 0x1080, v3
	s_mov_b64 s[50:51], 0
.LBB14_142:                             ;   Parent Loop BB14_18 Depth=1
                                        ; =>  This Inner Loop Header: Depth=2
	global_load_dword v4, v[0:1], off
	v_mov_b32_e32 v5, s82
	v_add_co_u32_e32 v0, vcc, s81, v0
	v_add_u32_e32 v2, s71, v2
	v_addc_co_u32_e32 v1, vcc, v1, v5, vcc
	v_cmp_lt_u32_e32 vcc, s88, v2
	s_or_b64 s[50:51], vcc, s[50:51]
	s_waitcnt vmcnt(0)
	ds_write_b32 v3, v4
	v_add_u32_e32 v3, s81, v3
	s_andn2_b64 exec, exec, s[50:51]
	s_cbranch_execnz .LBB14_142
.LBB14_143:                             ;   in Loop: Header=BB14_18 Depth=1
	s_or_b64 exec, exec, s[6:7]
	s_waitcnt lgkmcnt(0)
	s_barrier
	flat_load_dword v0, v[34:35] glc
	s_waitcnt vmcnt(0) lgkmcnt(0)
	ds_write_b32 v32, v0
	s_waitcnt lgkmcnt(0)
	s_barrier
	ds_read_b32 v0, v32
	s_waitcnt lgkmcnt(0)
	s_barrier
	ds_write_b32 v29, v0
	s_waitcnt lgkmcnt(0)
	s_barrier
	s_and_saveexec_b64 s[6:7], s[8:9]
	s_cbranch_execz .LBB14_145
; %bb.144:                              ;   in Loop: Header=BB14_18 Depth=1
	ds_read2_b32 v[2:3], v50 offset1:1
	ds_read2_b32 v[4:5], v50 offset0:2 offset1:3
	ds_read2_b32 v[6:7], v50 offset0:4 offset1:5
	;; [unrolled: 1-line block ×7, first 2 shown]
	s_waitcnt lgkmcnt(7)
	v_add_u32_e32 v1, v3, v2
	s_waitcnt lgkmcnt(6)
	v_add3_u32 v1, v1, v4, v5
	s_waitcnt lgkmcnt(5)
	v_add3_u32 v1, v1, v6, v7
	;; [unrolled: 2-line block ×7, first 2 shown]
	v_and_b32_e32 v30, 15, v57
	v_cmp_ne_u32_e32 vcc, 0, v30
	v_mov_b32_dpp v37, v1 row_shr:1 row_mask:0xf bank_mask:0xf
	v_cndmask_b32_e32 v37, 0, v37, vcc
	v_add_u32_e32 v1, v37, v1
	v_cmp_lt_u32_e32 vcc, 1, v30
	s_nop 0
	v_mov_b32_dpp v37, v1 row_shr:2 row_mask:0xf bank_mask:0xf
	v_cndmask_b32_e32 v37, 0, v37, vcc
	v_add_u32_e32 v1, v1, v37
	v_cmp_lt_u32_e32 vcc, 3, v30
	s_nop 0
	;; [unrolled: 5-line block ×3, first 2 shown]
	v_mov_b32_dpp v37, v1 row_shr:8 row_mask:0xf bank_mask:0xf
	v_cndmask_b32_e32 v30, 0, v37, vcc
	v_add_u32_e32 v1, v1, v30
	v_bfe_i32 v37, v57, 4, 1
	v_cmp_lt_u32_e32 vcc, 31, v57
	v_mov_b32_dpp v30, v1 row_bcast:15 row_mask:0xf bank_mask:0xf
	v_and_b32_e32 v30, v37, v30
	v_add_u32_e32 v1, v1, v30
	v_and_b32_e32 v37, 64, v57
	s_nop 0
	v_mov_b32_dpp v30, v1 row_bcast:31 row_mask:0xf bank_mask:0xf
	v_cndmask_b32_e32 v30, 0, v30, vcc
	v_add_u32_e32 v1, v1, v30
	v_add_u32_e32 v30, -1, v57
	v_cmp_lt_i32_e32 vcc, v30, v37
	v_cndmask_b32_e32 v30, v30, v57, vcc
	v_lshlrev_b32_e32 v30, 2, v30
	ds_bpermute_b32 v1, v30, v1
	s_waitcnt lgkmcnt(0)
	v_add_u32_e32 v1, v1, v2
	v_cndmask_b32_e64 v0, v1, v0, s[18:19]
	v_add_u32_e32 v1, v0, v3
	ds_write2_b32 v50, v0, v1 offset1:1
	v_add_u32_e32 v0, v1, v4
	v_add_u32_e32 v1, v0, v5
	ds_write2_b32 v50, v0, v1 offset0:2 offset1:3
	v_add_u32_e32 v0, v1, v6
	v_add_u32_e32 v1, v0, v7
	ds_write2_b32 v50, v0, v1 offset0:4 offset1:5
	;; [unrolled: 3-line block ×7, first 2 shown]
.LBB14_145:                             ;   in Loop: Header=BB14_18 Depth=1
	s_or_b64 exec, exec, s[6:7]
	s_waitcnt lgkmcnt(0)
	s_barrier
	ds_read_b32 v0, v29
	s_waitcnt lgkmcnt(0)
	s_barrier
	s_mov_b64 s[50:51], 0
	ds_write_b32 v32, v0
	s_waitcnt lgkmcnt(0)
	s_barrier
	ds_read_b32 v0, v32
	v_mov_b32_e32 v3, v53
	v_mov_b32_e32 v4, v28
	s_waitcnt lgkmcnt(0)
	flat_store_dword v[34:35], v0
	s_waitcnt vmcnt(0) lgkmcnt(0)
	s_barrier
	ds_read_b32 v0, v31 offset:8576
	s_branch .LBB14_147
.LBB14_146:                             ;   in Loop: Header=BB14_147 Depth=2
	s_or_b64 exec, exec, s[6:7]
	v_add_u32_e32 v4, s71, v4
	v_cmp_lt_u32_e32 vcc, s88, v4
	s_or_b64 s[50:51], vcc, s[50:51]
	v_add_u32_e32 v3, s81, v3
	s_andn2_b64 exec, exec, s[50:51]
	s_cbranch_execz .LBB14_151
.LBB14_147:                             ;   Parent Loop BB14_18 Depth=1
                                        ; =>  This Inner Loop Header: Depth=2
	v_cmp_ne_u32_e32 vcc, 0, v4
	v_mov_b32_e32 v2, 0
	s_and_saveexec_b64 s[6:7], vcc
	s_cbranch_execz .LBB14_149
; %bb.148:                              ;   in Loop: Header=BB14_147 Depth=2
	ds_read_b32 v2, v3
.LBB14_149:                             ;   in Loop: Header=BB14_147 Depth=2
	s_or_b64 exec, exec, s[6:7]
	ds_read_b32 v5, v3 offset:4
	s_waitcnt lgkmcnt(1)
	v_cmp_gt_i32_e32 vcc, v40, v2
	s_waitcnt lgkmcnt(0)
	v_cmp_ge_i32_e64 s[6:7], v5, v40
	s_and_b64 s[52:53], vcc, s[6:7]
	s_and_saveexec_b64 s[6:7], s[52:53]
	s_cbranch_execz .LBB14_146
; %bb.150:                              ;   in Loop: Header=BB14_147 Depth=2
	v_sub_u32_e32 v1, v40, v2
	v_sub_u32_e32 v2, v5, v2
	v_lshl_or_b32 v0, v4, s56, v0
	ds_write_b96 v31, v[0:2] offset:8576
	s_branch .LBB14_146
.LBB14_151:                             ;   in Loop: Header=BB14_18 Depth=1
	s_or_b64 exec, exec, s[50:51]
	s_cmp_eq_u32 s89, 3
	s_waitcnt lgkmcnt(0)
	s_barrier
	s_cbranch_scc0 .LBB14_516
; %bb.152:                              ;   in Loop: Header=BB14_18 Depth=1
	ds_read_b64 v[40:41], v31 offset:8576
	s_and_saveexec_b64 s[6:7], s[10:11]
	s_cbranch_execz .LBB14_155
; %bb.153:                              ;   in Loop: Header=BB14_18 Depth=1
	s_waitcnt lgkmcnt(0)
	global_store_dword v31, v41, s[22:23]
	global_store_dword v31, v40, s[22:23] offset:12
	s_or_b64 exec, exec, s[6:7]
	v_mov_b32_e32 v42, v14
	s_and_saveexec_b64 s[6:7], s[4:5]
	s_cbranch_execnz .LBB14_156
.LBB14_154:                             ;   in Loop: Header=BB14_18 Depth=1
	s_or_b64 exec, exec, s[6:7]
	v_cmp_gt_i32_e32 vcc, s28, v42
	s_and_saveexec_b64 s[6:7], vcc
	s_cbranch_execnz .LBB14_415
	s_branch .LBB14_481
.LBB14_155:                             ;   in Loop: Header=BB14_18 Depth=1
	s_or_b64 exec, exec, s[6:7]
	v_mov_b32_e32 v42, v14
	s_and_saveexec_b64 s[6:7], s[4:5]
	s_cbranch_execz .LBB14_154
.LBB14_156:                             ;   in Loop: Header=BB14_18 Depth=1
	s_mov_b64 s[50:51], 0
	v_pk_mov_b32 v[44:45], v[26:27], v[26:27] op_sel:[0,1]
	v_pk_mov_b32 v[42:43], v[24:25], v[24:25] op_sel:[0,1]
	s_branch .LBB14_158
.LBB14_157:                             ;   in Loop: Header=BB14_158 Depth=2
	s_or_b64 exec, exec, s[54:55]
	v_add_u32_e32 v42, s63, v42
	v_ashrrev_i32_e32 v43, 31, v42
	v_mov_b32_e32 v0, s69
	v_add_co_u32_e32 v44, vcc, s70, v42
	v_addc_co_u32_e32 v45, vcc, v0, v43, vcc
	v_cmp_le_u64_e32 vcc, s[28:29], v[44:45]
	s_or_b64 s[50:51], vcc, s[50:51]
	s_andn2_b64 exec, exec, s[50:51]
	s_cbranch_execz .LBB14_414
.LBB14_158:                             ;   Parent Loop BB14_18 Depth=1
                                        ; =>  This Inner Loop Header: Depth=2
	v_lshlrev_b64 v[0:1], 4, v[42:43]
	s_waitcnt vmcnt(0)
	v_mov_b32_e32 v2, s68
	v_add_co_u32_e32 v4, vcc, s62, v0
	v_addc_co_u32_e32 v5, vcc, v2, v1, vcc
	global_load_dwordx4 v[0:3], v[4:5], off
	v_mov_b32_e32 v6, s35
	v_add_co_u32_e32 v8, vcc, s34, v4
	v_addc_co_u32_e32 v9, vcc, v5, v6, vcc
	global_load_dwordx4 v[4:7], v[8:9], off
	v_lshl_add_u32 v10, v42, 2, s30
	s_mov_b64 s[56:57], 0
	s_mov_b64 s[52:53], 0
                                        ; implicit-def: $vgpr46
	s_waitcnt vmcnt(1)
	v_cmp_gt_i32_e32 vcc, 0, v0
	v_cndmask_b32_e64 v11, v56, 0, vcc
	v_xor_b32_e32 v11, v11, v0
	s_waitcnt lgkmcnt(0)
	v_cmp_ge_u32_e32 vcc, v11, v40
                                        ; implicit-def: $vgpr0
	s_and_saveexec_b64 s[54:55], vcc
	s_xor_b64 s[54:55], exec, s[54:55]
	s_cbranch_execz .LBB14_168
; %bb.159:                              ;   in Loop: Header=BB14_158 Depth=2
	v_cmp_eq_u32_e32 vcc, v11, v40
	s_mov_b64 s[58:59], 0
                                        ; implicit-def: $vgpr46
	s_and_saveexec_b64 s[52:53], vcc
	s_cbranch_execz .LBB14_165
; %bb.160:                              ;   in Loop: Header=BB14_158 Depth=2
	s_mov_b64 s[58:59], exec
	v_mbcnt_lo_u32_b32 v0, s58, 0
	v_mbcnt_hi_u32_b32 v0, s59, v0
	v_cmp_eq_u32_e32 vcc, 0, v0
                                        ; implicit-def: $vgpr11
	s_and_saveexec_b64 s[56:57], vcc
	s_cbranch_execz .LBB14_162
; %bb.161:                              ;   in Loop: Header=BB14_158 Depth=2
	s_bcnt1_i32_b64 s42, s[58:59]
	v_mov_b32_e32 v11, s42
	global_atomic_add v11, v31, v11, s[22:23] offset:512 glc
.LBB14_162:                             ;   in Loop: Header=BB14_158 Depth=2
	s_or_b64 exec, exec, s[56:57]
	s_waitcnt vmcnt(0)
	v_readfirstlane_b32 s42, v11
	v_add_u32_e32 v0, s42, v0
	v_cmp_lt_i32_e32 vcc, v0, v41
	s_mov_b64 s[56:57], 0
	s_mov_b64 s[58:59], 0
                                        ; implicit-def: $vgpr46
	s_and_saveexec_b64 s[60:61], vcc
	s_xor_b64 s[60:61], exec, s[60:61]
; %bb.163:                              ;   in Loop: Header=BB14_158 Depth=2
	v_xad_u32 v46, v0, -1, s36
	s_and_b64 s[58:59], s[44:45], exec
	s_and_b64 s[56:57], s[24:25], exec
; %bb.164:                              ;   in Loop: Header=BB14_158 Depth=2
	s_or_b64 exec, exec, s[60:61]
	s_and_b64 s[58:59], s[58:59], exec
	s_and_b64 s[56:57], s[56:57], exec
.LBB14_165:                             ;   in Loop: Header=BB14_158 Depth=2
	s_or_b64 exec, exec, s[52:53]
	s_and_b64 s[52:53], s[58:59], exec
	s_and_b64 s[56:57], s[56:57], exec
	v_mov_b32_e32 v0, v10
	s_andn2_saveexec_b64 s[54:55], s[54:55]
	s_cbranch_execnz .LBB14_169
.LBB14_166:                             ;   in Loop: Header=BB14_158 Depth=2
	s_or_b64 exec, exec, s[54:55]
	v_ashrrev_i32_e32 v11, 31, v10
	s_and_saveexec_b64 s[54:55], s[56:57]
	s_cbranch_execz .LBB14_172
.LBB14_167:                             ;   in Loop: Header=BB14_158 Depth=2
	v_lshlrev_b64 v[48:49], 2, v[10:11]
	v_mov_b32_e32 v0, s21
	v_add_co_u32_e32 v48, vcc, s20, v48
	v_addc_co_u32_e32 v49, vcc, v0, v49, vcc
	global_load_dword v0, v[48:49], off
	s_or_b64 s[52:53], s[52:53], exec
	s_or_b64 exec, exec, s[54:55]
	s_and_saveexec_b64 s[54:55], s[52:53]
	s_cbranch_execnz .LBB14_173
	s_branch .LBB14_174
.LBB14_168:                             ;   in Loop: Header=BB14_158 Depth=2
	s_andn2_saveexec_b64 s[54:55], s[54:55]
	s_cbranch_execz .LBB14_166
.LBB14_169:                             ;   in Loop: Header=BB14_158 Depth=2
	s_mov_b64 s[60:61], exec
	v_mbcnt_lo_u32_b32 v0, s60, 0
	v_mbcnt_hi_u32_b32 v0, s61, v0
	v_cmp_eq_u32_e32 vcc, 0, v0
                                        ; implicit-def: $vgpr11
	s_and_saveexec_b64 s[58:59], vcc
	s_cbranch_execz .LBB14_171
; %bb.170:                              ;   in Loop: Header=BB14_158 Depth=2
	s_bcnt1_i32_b64 s42, s[60:61]
	v_mov_b32_e32 v11, s42
	global_atomic_add v11, v31, v11, s[22:23] offset:384 glc
.LBB14_171:                             ;   in Loop: Header=BB14_158 Depth=2
	s_or_b64 exec, exec, s[58:59]
	s_andn2_b64 s[52:53], s[52:53], exec
	s_and_b64 s[58:59], s[44:45], exec
	s_waitcnt vmcnt(0)
	v_readfirstlane_b32 s42, v11
	s_or_b64 s[52:53], s[52:53], s[58:59]
	s_andn2_b64 s[56:57], s[56:57], exec
	s_and_b64 s[58:59], s[24:25], exec
	v_add_u32_e32 v46, s42, v0
	s_or_b64 s[56:57], s[56:57], s[58:59]
	v_mov_b32_e32 v0, v10
	s_or_b64 exec, exec, s[54:55]
	v_ashrrev_i32_e32 v11, 31, v10
	s_and_saveexec_b64 s[54:55], s[56:57]
	s_cbranch_execnz .LBB14_167
.LBB14_172:                             ;   in Loop: Header=BB14_158 Depth=2
	s_or_b64 exec, exec, s[54:55]
	s_and_saveexec_b64 s[54:55], s[52:53]
	s_cbranch_execz .LBB14_174
.LBB14_173:                             ;   in Loop: Header=BB14_158 Depth=2
	v_ashrrev_i32_e32 v47, 31, v46
	v_lshlrev_b64 v[46:47], 2, v[46:47]
	v_mov_b32_e32 v30, s37
	v_add_co_u32_e32 v46, vcc, s33, v46
	v_addc_co_u32_e32 v47, vcc, v30, v47, vcc
	s_waitcnt vmcnt(0)
	global_store_dword v[46:47], v0, off
.LBB14_174:                             ;   in Loop: Header=BB14_158 Depth=2
	s_or_b64 exec, exec, s[54:55]
	v_cmp_gt_i32_e32 vcc, 0, v1
	s_waitcnt vmcnt(0)
	v_cndmask_b32_e64 v0, v56, 0, vcc
	v_xor_b32_e32 v1, v0, v1
	v_add_u32_e32 v30, 1, v10
	v_cmp_ge_u32_e32 vcc, v1, v40
	s_mov_b64 s[56:57], 0
	s_mov_b64 s[52:53], 0
                                        ; implicit-def: $vgpr0
	s_and_saveexec_b64 s[54:55], vcc
	s_xor_b64 s[54:55], exec, s[54:55]
	s_cbranch_execz .LBB14_184
; %bb.175:                              ;   in Loop: Header=BB14_158 Depth=2
	v_cmp_eq_u32_e32 vcc, v1, v40
	s_mov_b64 s[58:59], 0
                                        ; implicit-def: $vgpr0
	s_and_saveexec_b64 s[52:53], vcc
	s_cbranch_execz .LBB14_181
; %bb.176:                              ;   in Loop: Header=BB14_158 Depth=2
	s_mov_b64 s[58:59], exec
	v_mbcnt_lo_u32_b32 v0, s58, 0
	v_mbcnt_hi_u32_b32 v0, s59, v0
	v_cmp_eq_u32_e32 vcc, 0, v0
                                        ; implicit-def: $vgpr1
	s_and_saveexec_b64 s[56:57], vcc
	s_cbranch_execz .LBB14_178
; %bb.177:                              ;   in Loop: Header=BB14_158 Depth=2
	s_bcnt1_i32_b64 s42, s[58:59]
	v_mov_b32_e32 v1, s42
	global_atomic_add v1, v31, v1, s[22:23] offset:512 glc
.LBB14_178:                             ;   in Loop: Header=BB14_158 Depth=2
	s_or_b64 exec, exec, s[56:57]
	s_waitcnt vmcnt(0)
	v_readfirstlane_b32 s42, v1
	v_add_u32_e32 v1, s42, v0
	v_cmp_lt_i32_e32 vcc, v1, v41
	s_mov_b64 s[56:57], 0
	s_mov_b64 s[58:59], 0
                                        ; implicit-def: $vgpr0
	s_and_saveexec_b64 s[60:61], vcc
; %bb.179:                              ;   in Loop: Header=BB14_158 Depth=2
	v_xad_u32 v0, v1, -1, s36
	s_and_b64 s[58:59], s[44:45], exec
	s_and_b64 s[56:57], s[24:25], exec
; %bb.180:                              ;   in Loop: Header=BB14_158 Depth=2
	s_or_b64 exec, exec, s[60:61]
	s_and_b64 s[58:59], s[58:59], exec
	s_and_b64 s[56:57], s[56:57], exec
.LBB14_181:                             ;   in Loop: Header=BB14_158 Depth=2
	s_or_b64 exec, exec, s[52:53]
	s_and_b64 s[52:53], s[58:59], exec
	s_and_b64 s[56:57], s[56:57], exec
	s_andn2_saveexec_b64 s[54:55], s[54:55]
	s_cbranch_execnz .LBB14_185
.LBB14_182:                             ;   in Loop: Header=BB14_158 Depth=2
	s_or_b64 exec, exec, s[54:55]
	s_and_saveexec_b64 s[54:55], s[56:57]
	s_cbranch_execz .LBB14_188
.LBB14_183:                             ;   in Loop: Header=BB14_158 Depth=2
	v_lshlrev_b64 v[46:47], 2, v[10:11]
	v_mov_b32_e32 v1, s31
	v_add_co_u32_e32 v46, vcc, s27, v46
	v_addc_co_u32_e32 v47, vcc, v1, v47, vcc
	global_load_dword v30, v[46:47], off
	s_or_b64 s[52:53], s[52:53], exec
	s_or_b64 exec, exec, s[54:55]
	s_and_saveexec_b64 s[54:55], s[52:53]
	s_cbranch_execnz .LBB14_189
	s_branch .LBB14_190
.LBB14_184:                             ;   in Loop: Header=BB14_158 Depth=2
	s_andn2_saveexec_b64 s[54:55], s[54:55]
	s_cbranch_execz .LBB14_182
.LBB14_185:                             ;   in Loop: Header=BB14_158 Depth=2
	s_mov_b64 s[60:61], exec
	v_mbcnt_lo_u32_b32 v0, s60, 0
	v_mbcnt_hi_u32_b32 v0, s61, v0
	v_cmp_eq_u32_e32 vcc, 0, v0
                                        ; implicit-def: $vgpr1
	s_and_saveexec_b64 s[58:59], vcc
	s_cbranch_execz .LBB14_187
; %bb.186:                              ;   in Loop: Header=BB14_158 Depth=2
	s_bcnt1_i32_b64 s42, s[60:61]
	v_mov_b32_e32 v1, s42
	global_atomic_add v1, v31, v1, s[22:23] offset:384 glc
.LBB14_187:                             ;   in Loop: Header=BB14_158 Depth=2
	s_or_b64 exec, exec, s[58:59]
	s_andn2_b64 s[52:53], s[52:53], exec
	s_and_b64 s[58:59], s[44:45], exec
	s_waitcnt vmcnt(0)
	v_readfirstlane_b32 s42, v1
	s_or_b64 s[52:53], s[52:53], s[58:59]
	s_andn2_b64 s[56:57], s[56:57], exec
	s_and_b64 s[58:59], s[24:25], exec
	v_add_u32_e32 v0, s42, v0
	s_or_b64 s[56:57], s[56:57], s[58:59]
	s_or_b64 exec, exec, s[54:55]
	s_and_saveexec_b64 s[54:55], s[56:57]
	s_cbranch_execnz .LBB14_183
.LBB14_188:                             ;   in Loop: Header=BB14_158 Depth=2
	s_or_b64 exec, exec, s[54:55]
	s_and_saveexec_b64 s[54:55], s[52:53]
	s_cbranch_execz .LBB14_190
.LBB14_189:                             ;   in Loop: Header=BB14_158 Depth=2
	v_ashrrev_i32_e32 v1, 31, v0
	v_lshlrev_b64 v[0:1], 2, v[0:1]
	v_mov_b32_e32 v37, s37
	v_add_co_u32_e32 v0, vcc, s33, v0
	v_addc_co_u32_e32 v1, vcc, v37, v1, vcc
	s_waitcnt vmcnt(0)
	global_store_dword v[0:1], v30, off
.LBB14_190:                             ;   in Loop: Header=BB14_158 Depth=2
	s_or_b64 exec, exec, s[54:55]
	v_cmp_gt_i32_e32 vcc, 0, v2
	v_cndmask_b32_e64 v0, v56, 0, vcc
	v_xor_b32_e32 v1, v0, v2
	s_waitcnt vmcnt(0)
	v_add_u32_e32 v30, 2, v10
	v_cmp_ge_u32_e32 vcc, v1, v40
	s_mov_b64 s[56:57], 0
	s_mov_b64 s[52:53], 0
                                        ; implicit-def: $vgpr0
	s_and_saveexec_b64 s[54:55], vcc
	s_xor_b64 s[54:55], exec, s[54:55]
	s_cbranch_execz .LBB14_200
; %bb.191:                              ;   in Loop: Header=BB14_158 Depth=2
	v_cmp_eq_u32_e32 vcc, v1, v40
	s_mov_b64 s[58:59], 0
                                        ; implicit-def: $vgpr0
	s_and_saveexec_b64 s[52:53], vcc
	s_cbranch_execz .LBB14_197
; %bb.192:                              ;   in Loop: Header=BB14_158 Depth=2
	s_mov_b64 s[58:59], exec
	v_mbcnt_lo_u32_b32 v0, s58, 0
	v_mbcnt_hi_u32_b32 v0, s59, v0
	v_cmp_eq_u32_e32 vcc, 0, v0
                                        ; implicit-def: $vgpr1
	s_and_saveexec_b64 s[56:57], vcc
	s_cbranch_execz .LBB14_194
; %bb.193:                              ;   in Loop: Header=BB14_158 Depth=2
	s_bcnt1_i32_b64 s42, s[58:59]
	v_mov_b32_e32 v1, s42
	global_atomic_add v1, v31, v1, s[22:23] offset:512 glc
.LBB14_194:                             ;   in Loop: Header=BB14_158 Depth=2
	s_or_b64 exec, exec, s[56:57]
	s_waitcnt vmcnt(0)
	v_readfirstlane_b32 s42, v1
	v_add_u32_e32 v1, s42, v0
	v_cmp_lt_i32_e32 vcc, v1, v41
	s_mov_b64 s[56:57], 0
	s_mov_b64 s[58:59], 0
                                        ; implicit-def: $vgpr0
	s_and_saveexec_b64 s[60:61], vcc
; %bb.195:                              ;   in Loop: Header=BB14_158 Depth=2
	v_xad_u32 v0, v1, -1, s36
	s_and_b64 s[58:59], s[44:45], exec
	s_and_b64 s[56:57], s[24:25], exec
; %bb.196:                              ;   in Loop: Header=BB14_158 Depth=2
	s_or_b64 exec, exec, s[60:61]
	s_and_b64 s[58:59], s[58:59], exec
	s_and_b64 s[56:57], s[56:57], exec
.LBB14_197:                             ;   in Loop: Header=BB14_158 Depth=2
	s_or_b64 exec, exec, s[52:53]
	s_and_b64 s[52:53], s[58:59], exec
	s_and_b64 s[56:57], s[56:57], exec
	s_andn2_saveexec_b64 s[54:55], s[54:55]
	s_cbranch_execnz .LBB14_201
.LBB14_198:                             ;   in Loop: Header=BB14_158 Depth=2
	s_or_b64 exec, exec, s[54:55]
	s_and_saveexec_b64 s[54:55], s[56:57]
	s_cbranch_execz .LBB14_204
.LBB14_199:                             ;   in Loop: Header=BB14_158 Depth=2
	v_lshlrev_b64 v[46:47], 2, v[10:11]
	v_mov_b32_e32 v1, s65
	v_add_co_u32_e32 v46, vcc, s64, v46
	v_addc_co_u32_e32 v47, vcc, v1, v47, vcc
	global_load_dword v30, v[46:47], off
	s_or_b64 s[52:53], s[52:53], exec
	s_or_b64 exec, exec, s[54:55]
	s_and_saveexec_b64 s[54:55], s[52:53]
	s_cbranch_execnz .LBB14_205
	s_branch .LBB14_206
.LBB14_200:                             ;   in Loop: Header=BB14_158 Depth=2
	s_andn2_saveexec_b64 s[54:55], s[54:55]
	s_cbranch_execz .LBB14_198
.LBB14_201:                             ;   in Loop: Header=BB14_158 Depth=2
	s_mov_b64 s[60:61], exec
	v_mbcnt_lo_u32_b32 v0, s60, 0
	v_mbcnt_hi_u32_b32 v0, s61, v0
	v_cmp_eq_u32_e32 vcc, 0, v0
                                        ; implicit-def: $vgpr1
	s_and_saveexec_b64 s[58:59], vcc
	s_cbranch_execz .LBB14_203
; %bb.202:                              ;   in Loop: Header=BB14_158 Depth=2
	s_bcnt1_i32_b64 s42, s[60:61]
	v_mov_b32_e32 v1, s42
	global_atomic_add v1, v31, v1, s[22:23] offset:384 glc
.LBB14_203:                             ;   in Loop: Header=BB14_158 Depth=2
	s_or_b64 exec, exec, s[58:59]
	s_andn2_b64 s[52:53], s[52:53], exec
	s_and_b64 s[58:59], s[44:45], exec
	s_waitcnt vmcnt(0)
	v_readfirstlane_b32 s42, v1
	s_or_b64 s[52:53], s[52:53], s[58:59]
	s_andn2_b64 s[56:57], s[56:57], exec
	s_and_b64 s[58:59], s[24:25], exec
	v_add_u32_e32 v0, s42, v0
	s_or_b64 s[56:57], s[56:57], s[58:59]
	s_or_b64 exec, exec, s[54:55]
	s_and_saveexec_b64 s[54:55], s[56:57]
	s_cbranch_execnz .LBB14_199
.LBB14_204:                             ;   in Loop: Header=BB14_158 Depth=2
	s_or_b64 exec, exec, s[54:55]
	s_and_saveexec_b64 s[54:55], s[52:53]
	s_cbranch_execz .LBB14_206
.LBB14_205:                             ;   in Loop: Header=BB14_158 Depth=2
	v_ashrrev_i32_e32 v1, 31, v0
	v_lshlrev_b64 v[0:1], 2, v[0:1]
	v_mov_b32_e32 v2, s37
	v_add_co_u32_e32 v0, vcc, s33, v0
	v_addc_co_u32_e32 v1, vcc, v2, v1, vcc
	s_waitcnt vmcnt(0)
	global_store_dword v[0:1], v30, off
.LBB14_206:                             ;   in Loop: Header=BB14_158 Depth=2
	s_or_b64 exec, exec, s[54:55]
	v_cmp_gt_i32_e32 vcc, 0, v3
	v_cndmask_b32_e64 v0, v56, 0, vcc
	v_xor_b32_e32 v1, v0, v3
	v_add_u32_e32 v2, 3, v10
	v_cmp_ge_u32_e32 vcc, v1, v40
	s_mov_b64 s[56:57], 0
	s_mov_b64 s[52:53], 0
                                        ; implicit-def: $vgpr0
	s_and_saveexec_b64 s[54:55], vcc
	s_xor_b64 s[54:55], exec, s[54:55]
	s_cbranch_execz .LBB14_216
; %bb.207:                              ;   in Loop: Header=BB14_158 Depth=2
	v_cmp_eq_u32_e32 vcc, v1, v40
	s_mov_b64 s[58:59], 0
                                        ; implicit-def: $vgpr0
	s_and_saveexec_b64 s[52:53], vcc
	s_cbranch_execz .LBB14_213
; %bb.208:                              ;   in Loop: Header=BB14_158 Depth=2
	s_mov_b64 s[58:59], exec
	v_mbcnt_lo_u32_b32 v0, s58, 0
	v_mbcnt_hi_u32_b32 v0, s59, v0
	v_cmp_eq_u32_e32 vcc, 0, v0
                                        ; implicit-def: $vgpr1
	s_and_saveexec_b64 s[56:57], vcc
	s_cbranch_execz .LBB14_210
; %bb.209:                              ;   in Loop: Header=BB14_158 Depth=2
	s_bcnt1_i32_b64 s42, s[58:59]
	v_mov_b32_e32 v1, s42
	global_atomic_add v1, v31, v1, s[22:23] offset:512 glc
.LBB14_210:                             ;   in Loop: Header=BB14_158 Depth=2
	s_or_b64 exec, exec, s[56:57]
	s_waitcnt vmcnt(0)
	v_readfirstlane_b32 s42, v1
	v_add_u32_e32 v1, s42, v0
	v_cmp_lt_i32_e32 vcc, v1, v41
	s_mov_b64 s[56:57], 0
	s_mov_b64 s[58:59], 0
                                        ; implicit-def: $vgpr0
	s_and_saveexec_b64 s[60:61], vcc
; %bb.211:                              ;   in Loop: Header=BB14_158 Depth=2
	v_xad_u32 v0, v1, -1, s36
	s_and_b64 s[58:59], s[44:45], exec
	s_and_b64 s[56:57], s[24:25], exec
; %bb.212:                              ;   in Loop: Header=BB14_158 Depth=2
	s_or_b64 exec, exec, s[60:61]
	s_and_b64 s[58:59], s[58:59], exec
	s_and_b64 s[56:57], s[56:57], exec
.LBB14_213:                             ;   in Loop: Header=BB14_158 Depth=2
	s_or_b64 exec, exec, s[52:53]
	s_and_b64 s[52:53], s[58:59], exec
	s_and_b64 s[56:57], s[56:57], exec
	s_andn2_saveexec_b64 s[54:55], s[54:55]
	s_cbranch_execnz .LBB14_217
.LBB14_214:                             ;   in Loop: Header=BB14_158 Depth=2
	s_or_b64 exec, exec, s[54:55]
	s_and_saveexec_b64 s[54:55], s[56:57]
	s_cbranch_execz .LBB14_220
.LBB14_215:                             ;   in Loop: Header=BB14_158 Depth=2
	v_lshlrev_b64 v[2:3], 2, v[10:11]
	v_mov_b32_e32 v1, s67
	v_add_co_u32_e32 v2, vcc, s66, v2
	v_addc_co_u32_e32 v3, vcc, v1, v3, vcc
	global_load_dword v2, v[2:3], off
	s_or_b64 s[52:53], s[52:53], exec
	s_or_b64 exec, exec, s[54:55]
	s_and_saveexec_b64 s[54:55], s[52:53]
	s_cbranch_execnz .LBB14_221
	s_branch .LBB14_222
.LBB14_216:                             ;   in Loop: Header=BB14_158 Depth=2
	s_andn2_saveexec_b64 s[54:55], s[54:55]
	s_cbranch_execz .LBB14_214
.LBB14_217:                             ;   in Loop: Header=BB14_158 Depth=2
	s_mov_b64 s[60:61], exec
	v_mbcnt_lo_u32_b32 v0, s60, 0
	v_mbcnt_hi_u32_b32 v0, s61, v0
	v_cmp_eq_u32_e32 vcc, 0, v0
                                        ; implicit-def: $vgpr1
	s_and_saveexec_b64 s[58:59], vcc
	s_cbranch_execz .LBB14_219
; %bb.218:                              ;   in Loop: Header=BB14_158 Depth=2
	s_bcnt1_i32_b64 s42, s[60:61]
	v_mov_b32_e32 v1, s42
	global_atomic_add v1, v31, v1, s[22:23] offset:384 glc
.LBB14_219:                             ;   in Loop: Header=BB14_158 Depth=2
	s_or_b64 exec, exec, s[58:59]
	s_andn2_b64 s[52:53], s[52:53], exec
	s_and_b64 s[58:59], s[44:45], exec
	s_waitcnt vmcnt(0)
	v_readfirstlane_b32 s42, v1
	s_or_b64 s[52:53], s[52:53], s[58:59]
	s_andn2_b64 s[56:57], s[56:57], exec
	s_and_b64 s[58:59], s[24:25], exec
	v_add_u32_e32 v0, s42, v0
	s_or_b64 s[56:57], s[56:57], s[58:59]
	s_or_b64 exec, exec, s[54:55]
	s_and_saveexec_b64 s[54:55], s[56:57]
	s_cbranch_execnz .LBB14_215
.LBB14_220:                             ;   in Loop: Header=BB14_158 Depth=2
	s_or_b64 exec, exec, s[54:55]
	s_and_saveexec_b64 s[54:55], s[52:53]
	s_cbranch_execz .LBB14_222
.LBB14_221:                             ;   in Loop: Header=BB14_158 Depth=2
	v_ashrrev_i32_e32 v1, 31, v0
	v_lshlrev_b64 v[0:1], 2, v[0:1]
	v_mov_b32_e32 v3, s37
	v_add_co_u32_e32 v0, vcc, s33, v0
	v_addc_co_u32_e32 v1, vcc, v3, v1, vcc
	s_waitcnt vmcnt(0)
	global_store_dword v[0:1], v2, off
.LBB14_222:                             ;   in Loop: Header=BB14_158 Depth=2
	s_or_b64 exec, exec, s[54:55]
	v_mov_b32_e32 v1, s35
	v_add_co_u32_e32 v0, vcc, s34, v8
	v_addc_co_u32_e32 v1, vcc, v9, v1, vcc
	s_waitcnt vmcnt(0)
	v_lshlrev_b64 v[2:3], 4, v[44:45]
	v_mov_b32_e32 v8, s68
	v_add_co_u32_e32 v2, vcc, s62, v2
	v_addc_co_u32_e32 v3, vcc, v8, v3, vcc
	global_load_dwordx4 v[8:11], v[0:1], off
	s_nop 0
	global_load_dwordx4 v[0:3], v[2:3], off
	v_add_co_u32_e32 v30, vcc, s26, v42
	v_cmp_gt_i32_e32 vcc, 0, v4
	v_cndmask_b32_e64 v37, v56, 0, vcc
	v_xor_b32_e32 v37, v37, v4
	v_lshl_add_u32 v46, v30, 2, s30
	v_cmp_ge_u32_e32 vcc, v37, v40
	s_mov_b64 s[56:57], 0
	s_mov_b64 s[52:53], 0
                                        ; implicit-def: $vgpr4
                                        ; implicit-def: $vgpr48
	s_and_saveexec_b64 s[54:55], vcc
	s_xor_b64 s[54:55], exec, s[54:55]
	s_cbranch_execz .LBB14_232
; %bb.223:                              ;   in Loop: Header=BB14_158 Depth=2
	v_cmp_eq_u32_e32 vcc, v37, v40
	s_mov_b64 s[58:59], 0
                                        ; implicit-def: $vgpr48
	s_and_saveexec_b64 s[52:53], vcc
	s_cbranch_execz .LBB14_229
; %bb.224:                              ;   in Loop: Header=BB14_158 Depth=2
	s_mov_b64 s[58:59], exec
	v_mbcnt_lo_u32_b32 v4, s58, 0
	v_mbcnt_hi_u32_b32 v4, s59, v4
	v_cmp_eq_u32_e32 vcc, 0, v4
                                        ; implicit-def: $vgpr37
	s_and_saveexec_b64 s[56:57], vcc
	s_cbranch_execz .LBB14_226
; %bb.225:                              ;   in Loop: Header=BB14_158 Depth=2
	s_bcnt1_i32_b64 s42, s[58:59]
	v_mov_b32_e32 v37, s42
	global_atomic_add v37, v31, v37, s[22:23] offset:512 glc
.LBB14_226:                             ;   in Loop: Header=BB14_158 Depth=2
	s_or_b64 exec, exec, s[56:57]
	s_waitcnt vmcnt(0)
	v_readfirstlane_b32 s42, v37
	v_add_u32_e32 v4, s42, v4
	v_cmp_lt_i32_e32 vcc, v4, v41
	s_mov_b64 s[56:57], 0
	s_mov_b64 s[58:59], 0
                                        ; implicit-def: $vgpr48
	s_and_saveexec_b64 s[60:61], vcc
	s_xor_b64 s[60:61], exec, s[60:61]
; %bb.227:                              ;   in Loop: Header=BB14_158 Depth=2
	v_xad_u32 v48, v4, -1, s36
	s_and_b64 s[58:59], s[44:45], exec
	s_and_b64 s[56:57], s[24:25], exec
; %bb.228:                              ;   in Loop: Header=BB14_158 Depth=2
	s_or_b64 exec, exec, s[60:61]
	s_and_b64 s[58:59], s[58:59], exec
	s_and_b64 s[56:57], s[56:57], exec
.LBB14_229:                             ;   in Loop: Header=BB14_158 Depth=2
	s_or_b64 exec, exec, s[52:53]
	s_and_b64 s[52:53], s[58:59], exec
	s_and_b64 s[56:57], s[56:57], exec
	v_mov_b32_e32 v4, v46
	s_andn2_saveexec_b64 s[54:55], s[54:55]
	s_cbranch_execnz .LBB14_233
.LBB14_230:                             ;   in Loop: Header=BB14_158 Depth=2
	s_or_b64 exec, exec, s[54:55]
	v_ashrrev_i32_e32 v47, 31, v46
	s_and_saveexec_b64 s[54:55], s[56:57]
	s_cbranch_execz .LBB14_236
.LBB14_231:                             ;   in Loop: Header=BB14_158 Depth=2
	v_lshlrev_b64 v[60:61], 2, v[46:47]
	v_mov_b32_e32 v4, s21
	v_add_co_u32_e32 v60, vcc, s20, v60
	v_addc_co_u32_e32 v61, vcc, v4, v61, vcc
	global_load_dword v4, v[60:61], off
	s_or_b64 s[52:53], s[52:53], exec
	s_or_b64 exec, exec, s[54:55]
	s_and_saveexec_b64 s[54:55], s[52:53]
	s_cbranch_execnz .LBB14_237
	s_branch .LBB14_238
.LBB14_232:                             ;   in Loop: Header=BB14_158 Depth=2
	s_andn2_saveexec_b64 s[54:55], s[54:55]
	s_cbranch_execz .LBB14_230
.LBB14_233:                             ;   in Loop: Header=BB14_158 Depth=2
	s_mov_b64 s[60:61], exec
	v_mbcnt_lo_u32_b32 v4, s60, 0
	v_mbcnt_hi_u32_b32 v4, s61, v4
	v_cmp_eq_u32_e32 vcc, 0, v4
                                        ; implicit-def: $vgpr37
	s_and_saveexec_b64 s[58:59], vcc
	s_cbranch_execz .LBB14_235
; %bb.234:                              ;   in Loop: Header=BB14_158 Depth=2
	s_bcnt1_i32_b64 s42, s[60:61]
	v_mov_b32_e32 v37, s42
	global_atomic_add v37, v31, v37, s[22:23] offset:384 glc
.LBB14_235:                             ;   in Loop: Header=BB14_158 Depth=2
	s_or_b64 exec, exec, s[58:59]
	s_andn2_b64 s[52:53], s[52:53], exec
	s_and_b64 s[58:59], s[44:45], exec
	s_waitcnt vmcnt(0)
	v_readfirstlane_b32 s42, v37
	s_or_b64 s[52:53], s[52:53], s[58:59]
	s_andn2_b64 s[56:57], s[56:57], exec
	s_and_b64 s[58:59], s[24:25], exec
	v_add_u32_e32 v48, s42, v4
	s_or_b64 s[56:57], s[56:57], s[58:59]
	v_mov_b32_e32 v4, v46
	s_or_b64 exec, exec, s[54:55]
	v_ashrrev_i32_e32 v47, 31, v46
	s_and_saveexec_b64 s[54:55], s[56:57]
	s_cbranch_execnz .LBB14_231
.LBB14_236:                             ;   in Loop: Header=BB14_158 Depth=2
	s_or_b64 exec, exec, s[54:55]
	s_and_saveexec_b64 s[54:55], s[52:53]
	s_cbranch_execz .LBB14_238
.LBB14_237:                             ;   in Loop: Header=BB14_158 Depth=2
	v_ashrrev_i32_e32 v49, 31, v48
	v_lshlrev_b64 v[48:49], 2, v[48:49]
	v_mov_b32_e32 v37, s37
	v_add_co_u32_e32 v48, vcc, s33, v48
	v_addc_co_u32_e32 v49, vcc, v37, v49, vcc
	s_waitcnt vmcnt(0)
	global_store_dword v[48:49], v4, off
.LBB14_238:                             ;   in Loop: Header=BB14_158 Depth=2
	s_or_b64 exec, exec, s[54:55]
	v_cmp_gt_i32_e32 vcc, 0, v5
	s_waitcnt vmcnt(0)
	v_cndmask_b32_e64 v4, v56, 0, vcc
	v_xor_b32_e32 v5, v4, v5
	v_add_u32_e32 v37, 1, v46
	v_cmp_ge_u32_e32 vcc, v5, v40
	s_mov_b64 s[56:57], 0
	s_mov_b64 s[52:53], 0
                                        ; implicit-def: $vgpr4
	s_and_saveexec_b64 s[54:55], vcc
	s_xor_b64 s[54:55], exec, s[54:55]
	s_cbranch_execz .LBB14_248
; %bb.239:                              ;   in Loop: Header=BB14_158 Depth=2
	v_cmp_eq_u32_e32 vcc, v5, v40
	s_mov_b64 s[58:59], 0
                                        ; implicit-def: $vgpr4
	s_and_saveexec_b64 s[52:53], vcc
	s_cbranch_execz .LBB14_245
; %bb.240:                              ;   in Loop: Header=BB14_158 Depth=2
	s_mov_b64 s[58:59], exec
	v_mbcnt_lo_u32_b32 v4, s58, 0
	v_mbcnt_hi_u32_b32 v4, s59, v4
	v_cmp_eq_u32_e32 vcc, 0, v4
                                        ; implicit-def: $vgpr5
	s_and_saveexec_b64 s[56:57], vcc
	s_cbranch_execz .LBB14_242
; %bb.241:                              ;   in Loop: Header=BB14_158 Depth=2
	s_bcnt1_i32_b64 s42, s[58:59]
	v_mov_b32_e32 v5, s42
	global_atomic_add v5, v31, v5, s[22:23] offset:512 glc
.LBB14_242:                             ;   in Loop: Header=BB14_158 Depth=2
	s_or_b64 exec, exec, s[56:57]
	s_waitcnt vmcnt(0)
	v_readfirstlane_b32 s42, v5
	v_add_u32_e32 v5, s42, v4
	v_cmp_lt_i32_e32 vcc, v5, v41
	s_mov_b64 s[56:57], 0
	s_mov_b64 s[58:59], 0
                                        ; implicit-def: $vgpr4
	s_and_saveexec_b64 s[60:61], vcc
; %bb.243:                              ;   in Loop: Header=BB14_158 Depth=2
	v_xad_u32 v4, v5, -1, s36
	s_and_b64 s[58:59], s[44:45], exec
	s_and_b64 s[56:57], s[24:25], exec
; %bb.244:                              ;   in Loop: Header=BB14_158 Depth=2
	s_or_b64 exec, exec, s[60:61]
	s_and_b64 s[58:59], s[58:59], exec
	s_and_b64 s[56:57], s[56:57], exec
.LBB14_245:                             ;   in Loop: Header=BB14_158 Depth=2
	s_or_b64 exec, exec, s[52:53]
	s_and_b64 s[52:53], s[58:59], exec
	s_and_b64 s[56:57], s[56:57], exec
	s_andn2_saveexec_b64 s[54:55], s[54:55]
	s_cbranch_execnz .LBB14_249
.LBB14_246:                             ;   in Loop: Header=BB14_158 Depth=2
	s_or_b64 exec, exec, s[54:55]
	s_and_saveexec_b64 s[54:55], s[56:57]
	s_cbranch_execz .LBB14_252
.LBB14_247:                             ;   in Loop: Header=BB14_158 Depth=2
	v_lshlrev_b64 v[48:49], 2, v[46:47]
	v_mov_b32_e32 v5, s31
	v_add_co_u32_e32 v48, vcc, s27, v48
	v_addc_co_u32_e32 v49, vcc, v5, v49, vcc
	global_load_dword v37, v[48:49], off
	s_or_b64 s[52:53], s[52:53], exec
	s_or_b64 exec, exec, s[54:55]
	s_and_saveexec_b64 s[54:55], s[52:53]
	s_cbranch_execnz .LBB14_253
	s_branch .LBB14_254
.LBB14_248:                             ;   in Loop: Header=BB14_158 Depth=2
	s_andn2_saveexec_b64 s[54:55], s[54:55]
	s_cbranch_execz .LBB14_246
.LBB14_249:                             ;   in Loop: Header=BB14_158 Depth=2
	s_mov_b64 s[60:61], exec
	v_mbcnt_lo_u32_b32 v4, s60, 0
	v_mbcnt_hi_u32_b32 v4, s61, v4
	v_cmp_eq_u32_e32 vcc, 0, v4
                                        ; implicit-def: $vgpr5
	s_and_saveexec_b64 s[58:59], vcc
	s_cbranch_execz .LBB14_251
; %bb.250:                              ;   in Loop: Header=BB14_158 Depth=2
	s_bcnt1_i32_b64 s42, s[60:61]
	v_mov_b32_e32 v5, s42
	global_atomic_add v5, v31, v5, s[22:23] offset:384 glc
.LBB14_251:                             ;   in Loop: Header=BB14_158 Depth=2
	s_or_b64 exec, exec, s[58:59]
	s_andn2_b64 s[52:53], s[52:53], exec
	s_and_b64 s[58:59], s[44:45], exec
	s_waitcnt vmcnt(0)
	v_readfirstlane_b32 s42, v5
	s_or_b64 s[52:53], s[52:53], s[58:59]
	s_andn2_b64 s[56:57], s[56:57], exec
	s_and_b64 s[58:59], s[24:25], exec
	v_add_u32_e32 v4, s42, v4
	s_or_b64 s[56:57], s[56:57], s[58:59]
	s_or_b64 exec, exec, s[54:55]
	s_and_saveexec_b64 s[54:55], s[56:57]
	s_cbranch_execnz .LBB14_247
.LBB14_252:                             ;   in Loop: Header=BB14_158 Depth=2
	s_or_b64 exec, exec, s[54:55]
	s_and_saveexec_b64 s[54:55], s[52:53]
	s_cbranch_execz .LBB14_254
.LBB14_253:                             ;   in Loop: Header=BB14_158 Depth=2
	v_ashrrev_i32_e32 v5, 31, v4
	v_lshlrev_b64 v[4:5], 2, v[4:5]
	v_mov_b32_e32 v43, s37
	v_add_co_u32_e32 v4, vcc, s33, v4
	v_addc_co_u32_e32 v5, vcc, v43, v5, vcc
	s_waitcnt vmcnt(0)
	global_store_dword v[4:5], v37, off
.LBB14_254:                             ;   in Loop: Header=BB14_158 Depth=2
	s_or_b64 exec, exec, s[54:55]
	v_cmp_gt_i32_e32 vcc, 0, v6
	v_cndmask_b32_e64 v4, v56, 0, vcc
	v_xor_b32_e32 v5, v4, v6
	s_waitcnt vmcnt(0)
	v_add_u32_e32 v37, 2, v46
	v_cmp_ge_u32_e32 vcc, v5, v40
	s_mov_b64 s[56:57], 0
	s_mov_b64 s[52:53], 0
                                        ; implicit-def: $vgpr4
	s_and_saveexec_b64 s[54:55], vcc
	s_xor_b64 s[54:55], exec, s[54:55]
	s_cbranch_execz .LBB14_264
; %bb.255:                              ;   in Loop: Header=BB14_158 Depth=2
	v_cmp_eq_u32_e32 vcc, v5, v40
	s_mov_b64 s[58:59], 0
                                        ; implicit-def: $vgpr4
	s_and_saveexec_b64 s[52:53], vcc
	s_cbranch_execz .LBB14_261
; %bb.256:                              ;   in Loop: Header=BB14_158 Depth=2
	s_mov_b64 s[58:59], exec
	v_mbcnt_lo_u32_b32 v4, s58, 0
	v_mbcnt_hi_u32_b32 v4, s59, v4
	v_cmp_eq_u32_e32 vcc, 0, v4
                                        ; implicit-def: $vgpr5
	s_and_saveexec_b64 s[56:57], vcc
	s_cbranch_execz .LBB14_258
; %bb.257:                              ;   in Loop: Header=BB14_158 Depth=2
	s_bcnt1_i32_b64 s42, s[58:59]
	v_mov_b32_e32 v5, s42
	global_atomic_add v5, v31, v5, s[22:23] offset:512 glc
.LBB14_258:                             ;   in Loop: Header=BB14_158 Depth=2
	s_or_b64 exec, exec, s[56:57]
	s_waitcnt vmcnt(0)
	v_readfirstlane_b32 s42, v5
	v_add_u32_e32 v5, s42, v4
	v_cmp_lt_i32_e32 vcc, v5, v41
	s_mov_b64 s[56:57], 0
	s_mov_b64 s[58:59], 0
                                        ; implicit-def: $vgpr4
	s_and_saveexec_b64 s[60:61], vcc
; %bb.259:                              ;   in Loop: Header=BB14_158 Depth=2
	v_xad_u32 v4, v5, -1, s36
	s_and_b64 s[58:59], s[44:45], exec
	s_and_b64 s[56:57], s[24:25], exec
; %bb.260:                              ;   in Loop: Header=BB14_158 Depth=2
	s_or_b64 exec, exec, s[60:61]
	s_and_b64 s[58:59], s[58:59], exec
	s_and_b64 s[56:57], s[56:57], exec
.LBB14_261:                             ;   in Loop: Header=BB14_158 Depth=2
	s_or_b64 exec, exec, s[52:53]
	s_and_b64 s[52:53], s[58:59], exec
	s_and_b64 s[56:57], s[56:57], exec
	s_andn2_saveexec_b64 s[54:55], s[54:55]
	s_cbranch_execnz .LBB14_265
.LBB14_262:                             ;   in Loop: Header=BB14_158 Depth=2
	s_or_b64 exec, exec, s[54:55]
	s_and_saveexec_b64 s[54:55], s[56:57]
	s_cbranch_execz .LBB14_268
.LBB14_263:                             ;   in Loop: Header=BB14_158 Depth=2
	v_lshlrev_b64 v[48:49], 2, v[46:47]
	v_mov_b32_e32 v5, s65
	v_add_co_u32_e32 v48, vcc, s64, v48
	v_addc_co_u32_e32 v49, vcc, v5, v49, vcc
	global_load_dword v37, v[48:49], off
	s_or_b64 s[52:53], s[52:53], exec
	s_or_b64 exec, exec, s[54:55]
	s_and_saveexec_b64 s[54:55], s[52:53]
	s_cbranch_execnz .LBB14_269
	s_branch .LBB14_270
.LBB14_264:                             ;   in Loop: Header=BB14_158 Depth=2
	s_andn2_saveexec_b64 s[54:55], s[54:55]
	s_cbranch_execz .LBB14_262
.LBB14_265:                             ;   in Loop: Header=BB14_158 Depth=2
	s_mov_b64 s[60:61], exec
	v_mbcnt_lo_u32_b32 v4, s60, 0
	v_mbcnt_hi_u32_b32 v4, s61, v4
	v_cmp_eq_u32_e32 vcc, 0, v4
                                        ; implicit-def: $vgpr5
	s_and_saveexec_b64 s[58:59], vcc
	s_cbranch_execz .LBB14_267
; %bb.266:                              ;   in Loop: Header=BB14_158 Depth=2
	s_bcnt1_i32_b64 s42, s[60:61]
	v_mov_b32_e32 v5, s42
	global_atomic_add v5, v31, v5, s[22:23] offset:384 glc
.LBB14_267:                             ;   in Loop: Header=BB14_158 Depth=2
	s_or_b64 exec, exec, s[58:59]
	s_andn2_b64 s[52:53], s[52:53], exec
	s_and_b64 s[58:59], s[44:45], exec
	s_waitcnt vmcnt(0)
	v_readfirstlane_b32 s42, v5
	s_or_b64 s[52:53], s[52:53], s[58:59]
	s_andn2_b64 s[56:57], s[56:57], exec
	s_and_b64 s[58:59], s[24:25], exec
	v_add_u32_e32 v4, s42, v4
	s_or_b64 s[56:57], s[56:57], s[58:59]
	s_or_b64 exec, exec, s[54:55]
	s_and_saveexec_b64 s[54:55], s[56:57]
	s_cbranch_execnz .LBB14_263
.LBB14_268:                             ;   in Loop: Header=BB14_158 Depth=2
	s_or_b64 exec, exec, s[54:55]
	s_and_saveexec_b64 s[54:55], s[52:53]
	s_cbranch_execz .LBB14_270
.LBB14_269:                             ;   in Loop: Header=BB14_158 Depth=2
	v_ashrrev_i32_e32 v5, 31, v4
	v_lshlrev_b64 v[4:5], 2, v[4:5]
	v_mov_b32_e32 v6, s37
	v_add_co_u32_e32 v4, vcc, s33, v4
	v_addc_co_u32_e32 v5, vcc, v6, v5, vcc
	s_waitcnt vmcnt(0)
	global_store_dword v[4:5], v37, off
.LBB14_270:                             ;   in Loop: Header=BB14_158 Depth=2
	s_or_b64 exec, exec, s[54:55]
	v_cmp_gt_i32_e32 vcc, 0, v7
	v_cndmask_b32_e64 v4, v56, 0, vcc
	v_xor_b32_e32 v5, v4, v7
	v_add_u32_e32 v6, 3, v46
	v_cmp_ge_u32_e32 vcc, v5, v40
	s_mov_b64 s[56:57], 0
	s_mov_b64 s[52:53], 0
                                        ; implicit-def: $vgpr4
	s_and_saveexec_b64 s[54:55], vcc
	s_xor_b64 s[54:55], exec, s[54:55]
	s_cbranch_execz .LBB14_280
; %bb.271:                              ;   in Loop: Header=BB14_158 Depth=2
	v_cmp_eq_u32_e32 vcc, v5, v40
	s_mov_b64 s[58:59], 0
                                        ; implicit-def: $vgpr4
	s_and_saveexec_b64 s[52:53], vcc
	s_cbranch_execz .LBB14_277
; %bb.272:                              ;   in Loop: Header=BB14_158 Depth=2
	s_mov_b64 s[58:59], exec
	v_mbcnt_lo_u32_b32 v4, s58, 0
	v_mbcnt_hi_u32_b32 v4, s59, v4
	v_cmp_eq_u32_e32 vcc, 0, v4
                                        ; implicit-def: $vgpr5
	s_and_saveexec_b64 s[56:57], vcc
	s_cbranch_execz .LBB14_274
; %bb.273:                              ;   in Loop: Header=BB14_158 Depth=2
	s_bcnt1_i32_b64 s42, s[58:59]
	v_mov_b32_e32 v5, s42
	global_atomic_add v5, v31, v5, s[22:23] offset:512 glc
.LBB14_274:                             ;   in Loop: Header=BB14_158 Depth=2
	s_or_b64 exec, exec, s[56:57]
	s_waitcnt vmcnt(0)
	v_readfirstlane_b32 s42, v5
	v_add_u32_e32 v5, s42, v4
	v_cmp_lt_i32_e32 vcc, v5, v41
	s_mov_b64 s[56:57], 0
	s_mov_b64 s[58:59], 0
                                        ; implicit-def: $vgpr4
	s_and_saveexec_b64 s[60:61], vcc
; %bb.275:                              ;   in Loop: Header=BB14_158 Depth=2
	v_xad_u32 v4, v5, -1, s36
	s_and_b64 s[58:59], s[44:45], exec
	s_and_b64 s[56:57], s[24:25], exec
; %bb.276:                              ;   in Loop: Header=BB14_158 Depth=2
	s_or_b64 exec, exec, s[60:61]
	s_and_b64 s[58:59], s[58:59], exec
	s_and_b64 s[56:57], s[56:57], exec
.LBB14_277:                             ;   in Loop: Header=BB14_158 Depth=2
	s_or_b64 exec, exec, s[52:53]
	s_and_b64 s[52:53], s[58:59], exec
	s_and_b64 s[56:57], s[56:57], exec
	s_andn2_saveexec_b64 s[54:55], s[54:55]
	s_cbranch_execnz .LBB14_281
.LBB14_278:                             ;   in Loop: Header=BB14_158 Depth=2
	s_or_b64 exec, exec, s[54:55]
	s_and_saveexec_b64 s[54:55], s[56:57]
	s_cbranch_execz .LBB14_284
.LBB14_279:                             ;   in Loop: Header=BB14_158 Depth=2
	v_lshlrev_b64 v[6:7], 2, v[46:47]
	v_mov_b32_e32 v5, s67
	v_add_co_u32_e32 v6, vcc, s66, v6
	v_addc_co_u32_e32 v7, vcc, v5, v7, vcc
	global_load_dword v6, v[6:7], off
	s_or_b64 s[52:53], s[52:53], exec
	s_or_b64 exec, exec, s[54:55]
	s_and_saveexec_b64 s[54:55], s[52:53]
	s_cbranch_execnz .LBB14_285
	s_branch .LBB14_286
.LBB14_280:                             ;   in Loop: Header=BB14_158 Depth=2
	s_andn2_saveexec_b64 s[54:55], s[54:55]
	s_cbranch_execz .LBB14_278
.LBB14_281:                             ;   in Loop: Header=BB14_158 Depth=2
	s_mov_b64 s[60:61], exec
	v_mbcnt_lo_u32_b32 v4, s60, 0
	v_mbcnt_hi_u32_b32 v4, s61, v4
	v_cmp_eq_u32_e32 vcc, 0, v4
                                        ; implicit-def: $vgpr5
	s_and_saveexec_b64 s[58:59], vcc
	s_cbranch_execz .LBB14_283
; %bb.282:                              ;   in Loop: Header=BB14_158 Depth=2
	s_bcnt1_i32_b64 s42, s[60:61]
	v_mov_b32_e32 v5, s42
	global_atomic_add v5, v31, v5, s[22:23] offset:384 glc
.LBB14_283:                             ;   in Loop: Header=BB14_158 Depth=2
	s_or_b64 exec, exec, s[58:59]
	s_andn2_b64 s[52:53], s[52:53], exec
	s_and_b64 s[58:59], s[44:45], exec
	s_waitcnt vmcnt(0)
	v_readfirstlane_b32 s42, v5
	s_or_b64 s[52:53], s[52:53], s[58:59]
	s_andn2_b64 s[56:57], s[56:57], exec
	s_and_b64 s[58:59], s[24:25], exec
	v_add_u32_e32 v4, s42, v4
	s_or_b64 s[56:57], s[56:57], s[58:59]
	s_or_b64 exec, exec, s[54:55]
	s_and_saveexec_b64 s[54:55], s[56:57]
	s_cbranch_execnz .LBB14_279
.LBB14_284:                             ;   in Loop: Header=BB14_158 Depth=2
	s_or_b64 exec, exec, s[54:55]
	s_and_saveexec_b64 s[54:55], s[52:53]
	s_cbranch_execz .LBB14_286
.LBB14_285:                             ;   in Loop: Header=BB14_158 Depth=2
	v_ashrrev_i32_e32 v5, 31, v4
	v_lshlrev_b64 v[4:5], 2, v[4:5]
	v_mov_b32_e32 v7, s37
	v_add_co_u32_e32 v4, vcc, s33, v4
	v_addc_co_u32_e32 v5, vcc, v7, v5, vcc
	s_waitcnt vmcnt(0)
	global_store_dword v[4:5], v6, off
.LBB14_286:                             ;   in Loop: Header=BB14_158 Depth=2
	s_or_b64 exec, exec, s[54:55]
	v_cmp_gt_i32_e32 vcc, 0, v8
	v_cndmask_b32_e64 v5, v56, 0, vcc
	v_add_u32_e32 v4, s26, v30
	v_xor_b32_e32 v5, v5, v8
	v_lshl_add_u32 v4, v4, 2, s30
	v_cmp_ge_u32_e32 vcc, v5, v40
	s_mov_b64 s[56:57], 0
	s_mov_b64 s[52:53], 0
                                        ; implicit-def: $vgpr8
                                        ; implicit-def: $vgpr6
	s_and_saveexec_b64 s[54:55], vcc
	s_xor_b64 s[54:55], exec, s[54:55]
	s_cbranch_execz .LBB14_296
; %bb.287:                              ;   in Loop: Header=BB14_158 Depth=2
	v_cmp_eq_u32_e32 vcc, v5, v40
	s_mov_b64 s[58:59], 0
                                        ; implicit-def: $vgpr6
	s_and_saveexec_b64 s[52:53], vcc
	s_cbranch_execz .LBB14_293
; %bb.288:                              ;   in Loop: Header=BB14_158 Depth=2
	s_mov_b64 s[58:59], exec
	v_mbcnt_lo_u32_b32 v5, s58, 0
	v_mbcnt_hi_u32_b32 v5, s59, v5
	v_cmp_eq_u32_e32 vcc, 0, v5
                                        ; implicit-def: $vgpr6
	s_and_saveexec_b64 s[56:57], vcc
	s_cbranch_execz .LBB14_290
; %bb.289:                              ;   in Loop: Header=BB14_158 Depth=2
	s_bcnt1_i32_b64 s42, s[58:59]
	s_waitcnt vmcnt(0)
	v_mov_b32_e32 v6, s42
	global_atomic_add v6, v31, v6, s[22:23] offset:512 glc
.LBB14_290:                             ;   in Loop: Header=BB14_158 Depth=2
	s_or_b64 exec, exec, s[56:57]
	s_waitcnt vmcnt(0)
	v_readfirstlane_b32 s42, v6
	v_add_u32_e32 v5, s42, v5
	v_cmp_lt_i32_e32 vcc, v5, v41
	s_mov_b64 s[56:57], 0
	s_mov_b64 s[58:59], 0
                                        ; implicit-def: $vgpr6
	s_and_saveexec_b64 s[60:61], vcc
	s_xor_b64 s[60:61], exec, s[60:61]
; %bb.291:                              ;   in Loop: Header=BB14_158 Depth=2
	v_xad_u32 v6, v5, -1, s36
	s_and_b64 s[58:59], s[44:45], exec
	s_and_b64 s[56:57], s[24:25], exec
; %bb.292:                              ;   in Loop: Header=BB14_158 Depth=2
	s_or_b64 exec, exec, s[60:61]
	s_and_b64 s[58:59], s[58:59], exec
	s_and_b64 s[56:57], s[56:57], exec
.LBB14_293:                             ;   in Loop: Header=BB14_158 Depth=2
	s_or_b64 exec, exec, s[52:53]
	s_and_b64 s[52:53], s[58:59], exec
	s_and_b64 s[56:57], s[56:57], exec
	v_mov_b32_e32 v8, v4
	s_andn2_saveexec_b64 s[54:55], s[54:55]
	s_cbranch_execnz .LBB14_297
.LBB14_294:                             ;   in Loop: Header=BB14_158 Depth=2
	s_or_b64 exec, exec, s[54:55]
	v_ashrrev_i32_e32 v5, 31, v4
	s_and_saveexec_b64 s[54:55], s[56:57]
	s_cbranch_execz .LBB14_300
.LBB14_295:                             ;   in Loop: Header=BB14_158 Depth=2
	v_lshlrev_b64 v[46:47], 2, v[4:5]
	v_mov_b32_e32 v7, s21
	v_add_co_u32_e32 v46, vcc, s20, v46
	v_addc_co_u32_e32 v47, vcc, v7, v47, vcc
	global_load_dword v8, v[46:47], off
	s_or_b64 s[52:53], s[52:53], exec
	s_or_b64 exec, exec, s[54:55]
	s_and_saveexec_b64 s[54:55], s[52:53]
	s_cbranch_execnz .LBB14_301
	s_branch .LBB14_302
.LBB14_296:                             ;   in Loop: Header=BB14_158 Depth=2
	s_andn2_saveexec_b64 s[54:55], s[54:55]
	s_cbranch_execz .LBB14_294
.LBB14_297:                             ;   in Loop: Header=BB14_158 Depth=2
	s_mov_b64 s[60:61], exec
	v_mbcnt_lo_u32_b32 v5, s60, 0
	v_mbcnt_hi_u32_b32 v5, s61, v5
	v_cmp_eq_u32_e32 vcc, 0, v5
                                        ; implicit-def: $vgpr6
	s_and_saveexec_b64 s[58:59], vcc
	s_cbranch_execz .LBB14_299
; %bb.298:                              ;   in Loop: Header=BB14_158 Depth=2
	s_bcnt1_i32_b64 s42, s[60:61]
	s_waitcnt vmcnt(0)
	v_mov_b32_e32 v6, s42
	global_atomic_add v6, v31, v6, s[22:23] offset:384 glc
.LBB14_299:                             ;   in Loop: Header=BB14_158 Depth=2
	s_or_b64 exec, exec, s[58:59]
	s_andn2_b64 s[52:53], s[52:53], exec
	s_and_b64 s[58:59], s[44:45], exec
	s_waitcnt vmcnt(0)
	v_readfirstlane_b32 s42, v6
	s_or_b64 s[52:53], s[52:53], s[58:59]
	s_andn2_b64 s[56:57], s[56:57], exec
	s_and_b64 s[58:59], s[24:25], exec
	v_add_u32_e32 v6, s42, v5
	s_or_b64 s[56:57], s[56:57], s[58:59]
	v_mov_b32_e32 v8, v4
	s_or_b64 exec, exec, s[54:55]
	v_ashrrev_i32_e32 v5, 31, v4
	s_and_saveexec_b64 s[54:55], s[56:57]
	s_cbranch_execnz .LBB14_295
.LBB14_300:                             ;   in Loop: Header=BB14_158 Depth=2
	s_or_b64 exec, exec, s[54:55]
	s_and_saveexec_b64 s[54:55], s[52:53]
	s_cbranch_execz .LBB14_302
.LBB14_301:                             ;   in Loop: Header=BB14_158 Depth=2
	s_waitcnt vmcnt(0)
	v_ashrrev_i32_e32 v7, 31, v6
	v_lshlrev_b64 v[6:7], 2, v[6:7]
	v_mov_b32_e32 v30, s37
	v_add_co_u32_e32 v6, vcc, s33, v6
	v_addc_co_u32_e32 v7, vcc, v30, v7, vcc
	global_store_dword v[6:7], v8, off
.LBB14_302:                             ;   in Loop: Header=BB14_158 Depth=2
	s_or_b64 exec, exec, s[54:55]
	v_cmp_gt_i32_e32 vcc, 0, v9
	s_waitcnt vmcnt(0)
	v_cndmask_b32_e64 v6, v56, 0, vcc
	v_xor_b32_e32 v7, v6, v9
	v_add_u32_e32 v8, 1, v4
	v_cmp_ge_u32_e32 vcc, v7, v40
	s_mov_b64 s[56:57], 0
	s_mov_b64 s[52:53], 0
                                        ; implicit-def: $vgpr6
	s_and_saveexec_b64 s[54:55], vcc
	s_xor_b64 s[54:55], exec, s[54:55]
	s_cbranch_execz .LBB14_312
; %bb.303:                              ;   in Loop: Header=BB14_158 Depth=2
	v_cmp_eq_u32_e32 vcc, v7, v40
	s_mov_b64 s[58:59], 0
                                        ; implicit-def: $vgpr6
	s_and_saveexec_b64 s[52:53], vcc
	s_cbranch_execz .LBB14_309
; %bb.304:                              ;   in Loop: Header=BB14_158 Depth=2
	s_mov_b64 s[58:59], exec
	v_mbcnt_lo_u32_b32 v6, s58, 0
	v_mbcnt_hi_u32_b32 v6, s59, v6
	v_cmp_eq_u32_e32 vcc, 0, v6
                                        ; implicit-def: $vgpr7
	s_and_saveexec_b64 s[56:57], vcc
	s_cbranch_execz .LBB14_306
; %bb.305:                              ;   in Loop: Header=BB14_158 Depth=2
	s_bcnt1_i32_b64 s42, s[58:59]
	v_mov_b32_e32 v7, s42
	global_atomic_add v7, v31, v7, s[22:23] offset:512 glc
.LBB14_306:                             ;   in Loop: Header=BB14_158 Depth=2
	s_or_b64 exec, exec, s[56:57]
	s_waitcnt vmcnt(0)
	v_readfirstlane_b32 s42, v7
	v_add_u32_e32 v7, s42, v6
	v_cmp_lt_i32_e32 vcc, v7, v41
	s_mov_b64 s[56:57], 0
	s_mov_b64 s[58:59], 0
                                        ; implicit-def: $vgpr6
	s_and_saveexec_b64 s[60:61], vcc
; %bb.307:                              ;   in Loop: Header=BB14_158 Depth=2
	v_xad_u32 v6, v7, -1, s36
	s_and_b64 s[58:59], s[44:45], exec
	s_and_b64 s[56:57], s[24:25], exec
; %bb.308:                              ;   in Loop: Header=BB14_158 Depth=2
	s_or_b64 exec, exec, s[60:61]
	s_and_b64 s[58:59], s[58:59], exec
	s_and_b64 s[56:57], s[56:57], exec
.LBB14_309:                             ;   in Loop: Header=BB14_158 Depth=2
	s_or_b64 exec, exec, s[52:53]
	s_and_b64 s[52:53], s[58:59], exec
	s_and_b64 s[56:57], s[56:57], exec
	s_andn2_saveexec_b64 s[54:55], s[54:55]
	s_cbranch_execnz .LBB14_313
.LBB14_310:                             ;   in Loop: Header=BB14_158 Depth=2
	s_or_b64 exec, exec, s[54:55]
	s_and_saveexec_b64 s[54:55], s[56:57]
	s_cbranch_execz .LBB14_316
.LBB14_311:                             ;   in Loop: Header=BB14_158 Depth=2
	v_lshlrev_b64 v[8:9], 2, v[4:5]
	v_mov_b32_e32 v7, s31
	v_add_co_u32_e32 v8, vcc, s27, v8
	v_addc_co_u32_e32 v9, vcc, v7, v9, vcc
	global_load_dword v8, v[8:9], off
	s_or_b64 s[52:53], s[52:53], exec
	s_or_b64 exec, exec, s[54:55]
	s_and_saveexec_b64 s[54:55], s[52:53]
	s_cbranch_execnz .LBB14_317
	s_branch .LBB14_318
.LBB14_312:                             ;   in Loop: Header=BB14_158 Depth=2
	s_andn2_saveexec_b64 s[54:55], s[54:55]
	s_cbranch_execz .LBB14_310
.LBB14_313:                             ;   in Loop: Header=BB14_158 Depth=2
	s_mov_b64 s[60:61], exec
	v_mbcnt_lo_u32_b32 v6, s60, 0
	v_mbcnt_hi_u32_b32 v6, s61, v6
	v_cmp_eq_u32_e32 vcc, 0, v6
                                        ; implicit-def: $vgpr7
	s_and_saveexec_b64 s[58:59], vcc
	s_cbranch_execz .LBB14_315
; %bb.314:                              ;   in Loop: Header=BB14_158 Depth=2
	s_bcnt1_i32_b64 s42, s[60:61]
	v_mov_b32_e32 v7, s42
	global_atomic_add v7, v31, v7, s[22:23] offset:384 glc
.LBB14_315:                             ;   in Loop: Header=BB14_158 Depth=2
	s_or_b64 exec, exec, s[58:59]
	s_andn2_b64 s[52:53], s[52:53], exec
	s_and_b64 s[58:59], s[44:45], exec
	s_waitcnt vmcnt(0)
	v_readfirstlane_b32 s42, v7
	s_or_b64 s[52:53], s[52:53], s[58:59]
	s_andn2_b64 s[56:57], s[56:57], exec
	s_and_b64 s[58:59], s[24:25], exec
	v_add_u32_e32 v6, s42, v6
	s_or_b64 s[56:57], s[56:57], s[58:59]
	s_or_b64 exec, exec, s[54:55]
	s_and_saveexec_b64 s[54:55], s[56:57]
	s_cbranch_execnz .LBB14_311
.LBB14_316:                             ;   in Loop: Header=BB14_158 Depth=2
	s_or_b64 exec, exec, s[54:55]
	s_and_saveexec_b64 s[54:55], s[52:53]
	s_cbranch_execz .LBB14_318
.LBB14_317:                             ;   in Loop: Header=BB14_158 Depth=2
	v_ashrrev_i32_e32 v7, 31, v6
	v_lshlrev_b64 v[6:7], 2, v[6:7]
	v_mov_b32_e32 v9, s37
	v_add_co_u32_e32 v6, vcc, s33, v6
	v_addc_co_u32_e32 v7, vcc, v9, v7, vcc
	s_waitcnt vmcnt(0)
	global_store_dword v[6:7], v8, off
.LBB14_318:                             ;   in Loop: Header=BB14_158 Depth=2
	s_or_b64 exec, exec, s[54:55]
	v_cmp_gt_i32_e32 vcc, 0, v10
	v_cndmask_b32_e64 v6, v56, 0, vcc
	v_xor_b32_e32 v7, v6, v10
	s_waitcnt vmcnt(0)
	v_add_u32_e32 v8, 2, v4
	v_cmp_ge_u32_e32 vcc, v7, v40
	s_mov_b64 s[56:57], 0
	s_mov_b64 s[52:53], 0
                                        ; implicit-def: $vgpr6
	s_and_saveexec_b64 s[54:55], vcc
	s_xor_b64 s[54:55], exec, s[54:55]
	s_cbranch_execz .LBB14_328
; %bb.319:                              ;   in Loop: Header=BB14_158 Depth=2
	v_cmp_eq_u32_e32 vcc, v7, v40
	s_mov_b64 s[58:59], 0
                                        ; implicit-def: $vgpr6
	s_and_saveexec_b64 s[52:53], vcc
	s_cbranch_execz .LBB14_325
; %bb.320:                              ;   in Loop: Header=BB14_158 Depth=2
	s_mov_b64 s[58:59], exec
	v_mbcnt_lo_u32_b32 v6, s58, 0
	v_mbcnt_hi_u32_b32 v6, s59, v6
	v_cmp_eq_u32_e32 vcc, 0, v6
                                        ; implicit-def: $vgpr7
	s_and_saveexec_b64 s[56:57], vcc
	s_cbranch_execz .LBB14_322
; %bb.321:                              ;   in Loop: Header=BB14_158 Depth=2
	s_bcnt1_i32_b64 s42, s[58:59]
	v_mov_b32_e32 v7, s42
	global_atomic_add v7, v31, v7, s[22:23] offset:512 glc
.LBB14_322:                             ;   in Loop: Header=BB14_158 Depth=2
	s_or_b64 exec, exec, s[56:57]
	s_waitcnt vmcnt(0)
	v_readfirstlane_b32 s42, v7
	v_add_u32_e32 v7, s42, v6
	v_cmp_lt_i32_e32 vcc, v7, v41
	s_mov_b64 s[56:57], 0
	s_mov_b64 s[58:59], 0
                                        ; implicit-def: $vgpr6
	s_and_saveexec_b64 s[60:61], vcc
; %bb.323:                              ;   in Loop: Header=BB14_158 Depth=2
	v_xad_u32 v6, v7, -1, s36
	s_and_b64 s[58:59], s[44:45], exec
	s_and_b64 s[56:57], s[24:25], exec
; %bb.324:                              ;   in Loop: Header=BB14_158 Depth=2
	s_or_b64 exec, exec, s[60:61]
	s_and_b64 s[58:59], s[58:59], exec
	s_and_b64 s[56:57], s[56:57], exec
.LBB14_325:                             ;   in Loop: Header=BB14_158 Depth=2
	s_or_b64 exec, exec, s[52:53]
	s_and_b64 s[52:53], s[58:59], exec
	s_and_b64 s[56:57], s[56:57], exec
	s_andn2_saveexec_b64 s[54:55], s[54:55]
	s_cbranch_execnz .LBB14_329
.LBB14_326:                             ;   in Loop: Header=BB14_158 Depth=2
	s_or_b64 exec, exec, s[54:55]
	s_and_saveexec_b64 s[54:55], s[56:57]
	s_cbranch_execz .LBB14_332
.LBB14_327:                             ;   in Loop: Header=BB14_158 Depth=2
	v_lshlrev_b64 v[8:9], 2, v[4:5]
	v_mov_b32_e32 v7, s65
	v_add_co_u32_e32 v8, vcc, s64, v8
	v_addc_co_u32_e32 v9, vcc, v7, v9, vcc
	global_load_dword v8, v[8:9], off
	s_or_b64 s[52:53], s[52:53], exec
	s_or_b64 exec, exec, s[54:55]
	s_and_saveexec_b64 s[54:55], s[52:53]
	s_cbranch_execnz .LBB14_333
	s_branch .LBB14_334
.LBB14_328:                             ;   in Loop: Header=BB14_158 Depth=2
	s_andn2_saveexec_b64 s[54:55], s[54:55]
	s_cbranch_execz .LBB14_326
.LBB14_329:                             ;   in Loop: Header=BB14_158 Depth=2
	s_mov_b64 s[60:61], exec
	v_mbcnt_lo_u32_b32 v6, s60, 0
	v_mbcnt_hi_u32_b32 v6, s61, v6
	v_cmp_eq_u32_e32 vcc, 0, v6
                                        ; implicit-def: $vgpr7
	s_and_saveexec_b64 s[58:59], vcc
	s_cbranch_execz .LBB14_331
; %bb.330:                              ;   in Loop: Header=BB14_158 Depth=2
	s_bcnt1_i32_b64 s42, s[60:61]
	v_mov_b32_e32 v7, s42
	global_atomic_add v7, v31, v7, s[22:23] offset:384 glc
.LBB14_331:                             ;   in Loop: Header=BB14_158 Depth=2
	s_or_b64 exec, exec, s[58:59]
	s_andn2_b64 s[52:53], s[52:53], exec
	s_and_b64 s[58:59], s[44:45], exec
	s_waitcnt vmcnt(0)
	v_readfirstlane_b32 s42, v7
	s_or_b64 s[52:53], s[52:53], s[58:59]
	s_andn2_b64 s[56:57], s[56:57], exec
	s_and_b64 s[58:59], s[24:25], exec
	v_add_u32_e32 v6, s42, v6
	s_or_b64 s[56:57], s[56:57], s[58:59]
	s_or_b64 exec, exec, s[54:55]
	s_and_saveexec_b64 s[54:55], s[56:57]
	s_cbranch_execnz .LBB14_327
.LBB14_332:                             ;   in Loop: Header=BB14_158 Depth=2
	s_or_b64 exec, exec, s[54:55]
	s_and_saveexec_b64 s[54:55], s[52:53]
	s_cbranch_execz .LBB14_334
.LBB14_333:                             ;   in Loop: Header=BB14_158 Depth=2
	v_ashrrev_i32_e32 v7, 31, v6
	v_lshlrev_b64 v[6:7], 2, v[6:7]
	v_mov_b32_e32 v9, s37
	v_add_co_u32_e32 v6, vcc, s33, v6
	v_addc_co_u32_e32 v7, vcc, v9, v7, vcc
	s_waitcnt vmcnt(0)
	global_store_dword v[6:7], v8, off
.LBB14_334:                             ;   in Loop: Header=BB14_158 Depth=2
	s_or_b64 exec, exec, s[54:55]
	v_cmp_gt_i32_e32 vcc, 0, v11
	v_cndmask_b32_e64 v6, v56, 0, vcc
	v_xor_b32_e32 v7, v6, v11
	s_waitcnt vmcnt(0)
	v_add_u32_e32 v8, 3, v4
	v_cmp_ge_u32_e32 vcc, v7, v40
	s_mov_b64 s[56:57], 0
	s_mov_b64 s[52:53], 0
                                        ; implicit-def: $vgpr6
	s_and_saveexec_b64 s[54:55], vcc
	s_xor_b64 s[54:55], exec, s[54:55]
	s_cbranch_execz .LBB14_344
; %bb.335:                              ;   in Loop: Header=BB14_158 Depth=2
	v_cmp_eq_u32_e32 vcc, v7, v40
	s_mov_b64 s[58:59], 0
                                        ; implicit-def: $vgpr6
	s_and_saveexec_b64 s[52:53], vcc
	s_cbranch_execz .LBB14_341
; %bb.336:                              ;   in Loop: Header=BB14_158 Depth=2
	s_mov_b64 s[58:59], exec
	v_mbcnt_lo_u32_b32 v6, s58, 0
	v_mbcnt_hi_u32_b32 v6, s59, v6
	v_cmp_eq_u32_e32 vcc, 0, v6
                                        ; implicit-def: $vgpr7
	s_and_saveexec_b64 s[56:57], vcc
	s_cbranch_execz .LBB14_338
; %bb.337:                              ;   in Loop: Header=BB14_158 Depth=2
	s_bcnt1_i32_b64 s42, s[58:59]
	v_mov_b32_e32 v7, s42
	global_atomic_add v7, v31, v7, s[22:23] offset:512 glc
.LBB14_338:                             ;   in Loop: Header=BB14_158 Depth=2
	s_or_b64 exec, exec, s[56:57]
	s_waitcnt vmcnt(0)
	v_readfirstlane_b32 s42, v7
	v_add_u32_e32 v7, s42, v6
	v_cmp_lt_i32_e32 vcc, v7, v41
	s_mov_b64 s[56:57], 0
	s_mov_b64 s[58:59], 0
                                        ; implicit-def: $vgpr6
	s_and_saveexec_b64 s[60:61], vcc
; %bb.339:                              ;   in Loop: Header=BB14_158 Depth=2
	v_xad_u32 v6, v7, -1, s36
	s_and_b64 s[58:59], s[44:45], exec
	s_and_b64 s[56:57], s[24:25], exec
; %bb.340:                              ;   in Loop: Header=BB14_158 Depth=2
	s_or_b64 exec, exec, s[60:61]
	s_and_b64 s[58:59], s[58:59], exec
	s_and_b64 s[56:57], s[56:57], exec
.LBB14_341:                             ;   in Loop: Header=BB14_158 Depth=2
	s_or_b64 exec, exec, s[52:53]
	s_and_b64 s[52:53], s[58:59], exec
	s_and_b64 s[56:57], s[56:57], exec
	s_andn2_saveexec_b64 s[54:55], s[54:55]
	s_cbranch_execnz .LBB14_345
.LBB14_342:                             ;   in Loop: Header=BB14_158 Depth=2
	s_or_b64 exec, exec, s[54:55]
	s_and_saveexec_b64 s[54:55], s[56:57]
	s_cbranch_execz .LBB14_348
.LBB14_343:                             ;   in Loop: Header=BB14_158 Depth=2
	v_lshlrev_b64 v[4:5], 2, v[4:5]
	v_mov_b32_e32 v7, s67
	v_add_co_u32_e32 v4, vcc, s66, v4
	v_addc_co_u32_e32 v5, vcc, v7, v5, vcc
	global_load_dword v8, v[4:5], off
	s_or_b64 s[52:53], s[52:53], exec
	s_or_b64 exec, exec, s[54:55]
	s_and_saveexec_b64 s[54:55], s[52:53]
	s_cbranch_execnz .LBB14_349
	s_branch .LBB14_350
.LBB14_344:                             ;   in Loop: Header=BB14_158 Depth=2
	s_andn2_saveexec_b64 s[54:55], s[54:55]
	s_cbranch_execz .LBB14_342
.LBB14_345:                             ;   in Loop: Header=BB14_158 Depth=2
	s_mov_b64 s[60:61], exec
	v_mbcnt_lo_u32_b32 v6, s60, 0
	v_mbcnt_hi_u32_b32 v6, s61, v6
	v_cmp_eq_u32_e32 vcc, 0, v6
                                        ; implicit-def: $vgpr7
	s_and_saveexec_b64 s[58:59], vcc
	s_cbranch_execz .LBB14_347
; %bb.346:                              ;   in Loop: Header=BB14_158 Depth=2
	s_bcnt1_i32_b64 s42, s[60:61]
	v_mov_b32_e32 v7, s42
	global_atomic_add v7, v31, v7, s[22:23] offset:384 glc
.LBB14_347:                             ;   in Loop: Header=BB14_158 Depth=2
	s_or_b64 exec, exec, s[58:59]
	s_andn2_b64 s[52:53], s[52:53], exec
	s_and_b64 s[58:59], s[44:45], exec
	s_waitcnt vmcnt(0)
	v_readfirstlane_b32 s42, v7
	s_or_b64 s[52:53], s[52:53], s[58:59]
	s_andn2_b64 s[56:57], s[56:57], exec
	s_and_b64 s[58:59], s[24:25], exec
	v_add_u32_e32 v6, s42, v6
	s_or_b64 s[56:57], s[56:57], s[58:59]
	s_or_b64 exec, exec, s[54:55]
	s_and_saveexec_b64 s[54:55], s[56:57]
	s_cbranch_execnz .LBB14_343
.LBB14_348:                             ;   in Loop: Header=BB14_158 Depth=2
	s_or_b64 exec, exec, s[54:55]
	s_and_saveexec_b64 s[54:55], s[52:53]
	s_cbranch_execz .LBB14_350
.LBB14_349:                             ;   in Loop: Header=BB14_158 Depth=2
	v_ashrrev_i32_e32 v7, 31, v6
	v_lshlrev_b64 v[4:5], 2, v[6:7]
	v_mov_b32_e32 v6, s37
	v_add_co_u32_e32 v4, vcc, s33, v4
	v_addc_co_u32_e32 v5, vcc, v6, v5, vcc
	s_waitcnt vmcnt(0)
	global_store_dword v[4:5], v8, off
.LBB14_350:                             ;   in Loop: Header=BB14_158 Depth=2
	s_or_b64 exec, exec, s[54:55]
	v_cmp_gt_i32_e32 vcc, 0, v0
	v_cndmask_b32_e64 v5, v56, 0, vcc
	v_xor_b32_e32 v5, v5, v0
	v_lshl_add_u32 v4, v44, 2, s30
	v_cmp_ge_u32_e32 vcc, v5, v40
	s_mov_b64 s[56:57], 0
	s_mov_b64 s[52:53], 0
                                        ; implicit-def: $vgpr0
                                        ; implicit-def: $vgpr6
	s_and_saveexec_b64 s[54:55], vcc
	s_xor_b64 s[54:55], exec, s[54:55]
	s_cbranch_execz .LBB14_360
; %bb.351:                              ;   in Loop: Header=BB14_158 Depth=2
	v_cmp_eq_u32_e32 vcc, v5, v40
	s_mov_b64 s[58:59], 0
                                        ; implicit-def: $vgpr6
	s_and_saveexec_b64 s[52:53], vcc
	s_cbranch_execz .LBB14_357
; %bb.352:                              ;   in Loop: Header=BB14_158 Depth=2
	s_mov_b64 s[58:59], exec
	v_mbcnt_lo_u32_b32 v0, s58, 0
	v_mbcnt_hi_u32_b32 v0, s59, v0
	v_cmp_eq_u32_e32 vcc, 0, v0
                                        ; implicit-def: $vgpr5
	s_and_saveexec_b64 s[56:57], vcc
	s_cbranch_execz .LBB14_354
; %bb.353:                              ;   in Loop: Header=BB14_158 Depth=2
	s_bcnt1_i32_b64 s42, s[58:59]
	v_mov_b32_e32 v5, s42
	global_atomic_add v5, v31, v5, s[22:23] offset:512 glc
.LBB14_354:                             ;   in Loop: Header=BB14_158 Depth=2
	s_or_b64 exec, exec, s[56:57]
	s_waitcnt vmcnt(0)
	v_readfirstlane_b32 s42, v5
	v_add_u32_e32 v0, s42, v0
	v_cmp_lt_i32_e32 vcc, v0, v41
	s_mov_b64 s[56:57], 0
	s_mov_b64 s[58:59], 0
                                        ; implicit-def: $vgpr6
	s_and_saveexec_b64 s[60:61], vcc
	s_xor_b64 s[60:61], exec, s[60:61]
; %bb.355:                              ;   in Loop: Header=BB14_158 Depth=2
	v_xad_u32 v6, v0, -1, s36
	s_and_b64 s[58:59], s[44:45], exec
	s_and_b64 s[56:57], s[24:25], exec
; %bb.356:                              ;   in Loop: Header=BB14_158 Depth=2
	s_or_b64 exec, exec, s[60:61]
	s_and_b64 s[58:59], s[58:59], exec
	s_and_b64 s[56:57], s[56:57], exec
.LBB14_357:                             ;   in Loop: Header=BB14_158 Depth=2
	s_or_b64 exec, exec, s[52:53]
	s_and_b64 s[52:53], s[58:59], exec
	s_and_b64 s[56:57], s[56:57], exec
	v_mov_b32_e32 v0, v4
	s_andn2_saveexec_b64 s[54:55], s[54:55]
	s_cbranch_execnz .LBB14_361
.LBB14_358:                             ;   in Loop: Header=BB14_158 Depth=2
	s_or_b64 exec, exec, s[54:55]
	v_ashrrev_i32_e32 v5, 31, v4
	s_and_saveexec_b64 s[54:55], s[56:57]
	s_cbranch_execz .LBB14_364
.LBB14_359:                             ;   in Loop: Header=BB14_158 Depth=2
	s_waitcnt vmcnt(0)
	v_lshlrev_b64 v[8:9], 2, v[4:5]
	v_mov_b32_e32 v0, s21
	v_add_co_u32_e32 v8, vcc, s20, v8
	v_addc_co_u32_e32 v9, vcc, v0, v9, vcc
	global_load_dword v0, v[8:9], off
	s_or_b64 s[52:53], s[52:53], exec
	s_or_b64 exec, exec, s[54:55]
	s_and_saveexec_b64 s[54:55], s[52:53]
	s_cbranch_execnz .LBB14_365
	s_branch .LBB14_366
.LBB14_360:                             ;   in Loop: Header=BB14_158 Depth=2
	s_andn2_saveexec_b64 s[54:55], s[54:55]
	s_cbranch_execz .LBB14_358
.LBB14_361:                             ;   in Loop: Header=BB14_158 Depth=2
	s_mov_b64 s[60:61], exec
	v_mbcnt_lo_u32_b32 v0, s60, 0
	v_mbcnt_hi_u32_b32 v0, s61, v0
	v_cmp_eq_u32_e32 vcc, 0, v0
                                        ; implicit-def: $vgpr5
	s_and_saveexec_b64 s[58:59], vcc
	s_cbranch_execz .LBB14_363
; %bb.362:                              ;   in Loop: Header=BB14_158 Depth=2
	s_bcnt1_i32_b64 s42, s[60:61]
	v_mov_b32_e32 v5, s42
	global_atomic_add v5, v31, v5, s[22:23] offset:384 glc
.LBB14_363:                             ;   in Loop: Header=BB14_158 Depth=2
	s_or_b64 exec, exec, s[58:59]
	s_andn2_b64 s[52:53], s[52:53], exec
	s_and_b64 s[58:59], s[44:45], exec
	s_waitcnt vmcnt(0)
	v_readfirstlane_b32 s42, v5
	s_or_b64 s[52:53], s[52:53], s[58:59]
	s_andn2_b64 s[56:57], s[56:57], exec
	s_and_b64 s[58:59], s[24:25], exec
	v_add_u32_e32 v6, s42, v0
	s_or_b64 s[56:57], s[56:57], s[58:59]
	v_mov_b32_e32 v0, v4
	s_or_b64 exec, exec, s[54:55]
	v_ashrrev_i32_e32 v5, 31, v4
	s_and_saveexec_b64 s[54:55], s[56:57]
	s_cbranch_execnz .LBB14_359
.LBB14_364:                             ;   in Loop: Header=BB14_158 Depth=2
	s_or_b64 exec, exec, s[54:55]
	s_and_saveexec_b64 s[54:55], s[52:53]
	s_cbranch_execz .LBB14_366
.LBB14_365:                             ;   in Loop: Header=BB14_158 Depth=2
	v_ashrrev_i32_e32 v7, 31, v6
	v_lshlrev_b64 v[6:7], 2, v[6:7]
	s_waitcnt vmcnt(0)
	v_mov_b32_e32 v8, s37
	v_add_co_u32_e32 v6, vcc, s33, v6
	v_addc_co_u32_e32 v7, vcc, v8, v7, vcc
	global_store_dword v[6:7], v0, off
.LBB14_366:                             ;   in Loop: Header=BB14_158 Depth=2
	s_or_b64 exec, exec, s[54:55]
	v_cmp_gt_i32_e32 vcc, 0, v1
	s_waitcnt vmcnt(0)
	v_cndmask_b32_e64 v0, v56, 0, vcc
	v_xor_b32_e32 v1, v0, v1
	v_add_u32_e32 v6, 1, v4
	v_cmp_ge_u32_e32 vcc, v1, v40
	s_mov_b64 s[56:57], 0
	s_mov_b64 s[52:53], 0
                                        ; implicit-def: $vgpr0
	s_and_saveexec_b64 s[54:55], vcc
	s_xor_b64 s[54:55], exec, s[54:55]
	s_cbranch_execz .LBB14_376
; %bb.367:                              ;   in Loop: Header=BB14_158 Depth=2
	v_cmp_eq_u32_e32 vcc, v1, v40
	s_mov_b64 s[58:59], 0
                                        ; implicit-def: $vgpr0
	s_and_saveexec_b64 s[52:53], vcc
	s_cbranch_execz .LBB14_373
; %bb.368:                              ;   in Loop: Header=BB14_158 Depth=2
	s_mov_b64 s[58:59], exec
	v_mbcnt_lo_u32_b32 v0, s58, 0
	v_mbcnt_hi_u32_b32 v0, s59, v0
	v_cmp_eq_u32_e32 vcc, 0, v0
                                        ; implicit-def: $vgpr1
	s_and_saveexec_b64 s[56:57], vcc
	s_cbranch_execz .LBB14_370
; %bb.369:                              ;   in Loop: Header=BB14_158 Depth=2
	s_bcnt1_i32_b64 s42, s[58:59]
	v_mov_b32_e32 v1, s42
	global_atomic_add v1, v31, v1, s[22:23] offset:512 glc
.LBB14_370:                             ;   in Loop: Header=BB14_158 Depth=2
	s_or_b64 exec, exec, s[56:57]
	s_waitcnt vmcnt(0)
	v_readfirstlane_b32 s42, v1
	v_add_u32_e32 v1, s42, v0
	v_cmp_lt_i32_e32 vcc, v1, v41
	s_mov_b64 s[56:57], 0
	s_mov_b64 s[58:59], 0
                                        ; implicit-def: $vgpr0
	s_and_saveexec_b64 s[60:61], vcc
; %bb.371:                              ;   in Loop: Header=BB14_158 Depth=2
	v_xad_u32 v0, v1, -1, s36
	s_and_b64 s[58:59], s[44:45], exec
	s_and_b64 s[56:57], s[24:25], exec
; %bb.372:                              ;   in Loop: Header=BB14_158 Depth=2
	s_or_b64 exec, exec, s[60:61]
	s_and_b64 s[58:59], s[58:59], exec
	s_and_b64 s[56:57], s[56:57], exec
.LBB14_373:                             ;   in Loop: Header=BB14_158 Depth=2
	s_or_b64 exec, exec, s[52:53]
	s_and_b64 s[52:53], s[58:59], exec
	s_and_b64 s[56:57], s[56:57], exec
	s_andn2_saveexec_b64 s[54:55], s[54:55]
	s_cbranch_execnz .LBB14_377
.LBB14_374:                             ;   in Loop: Header=BB14_158 Depth=2
	s_or_b64 exec, exec, s[54:55]
	s_and_saveexec_b64 s[54:55], s[56:57]
	s_cbranch_execz .LBB14_380
.LBB14_375:                             ;   in Loop: Header=BB14_158 Depth=2
	v_lshlrev_b64 v[6:7], 2, v[4:5]
	v_mov_b32_e32 v1, s31
	v_add_co_u32_e32 v6, vcc, s27, v6
	v_addc_co_u32_e32 v7, vcc, v1, v7, vcc
	global_load_dword v6, v[6:7], off
	s_or_b64 s[52:53], s[52:53], exec
	s_or_b64 exec, exec, s[54:55]
	s_and_saveexec_b64 s[54:55], s[52:53]
	s_cbranch_execnz .LBB14_381
	s_branch .LBB14_382
.LBB14_376:                             ;   in Loop: Header=BB14_158 Depth=2
	s_andn2_saveexec_b64 s[54:55], s[54:55]
	s_cbranch_execz .LBB14_374
.LBB14_377:                             ;   in Loop: Header=BB14_158 Depth=2
	s_mov_b64 s[60:61], exec
	v_mbcnt_lo_u32_b32 v0, s60, 0
	v_mbcnt_hi_u32_b32 v0, s61, v0
	v_cmp_eq_u32_e32 vcc, 0, v0
                                        ; implicit-def: $vgpr1
	s_and_saveexec_b64 s[58:59], vcc
	s_cbranch_execz .LBB14_379
; %bb.378:                              ;   in Loop: Header=BB14_158 Depth=2
	s_bcnt1_i32_b64 s42, s[60:61]
	v_mov_b32_e32 v1, s42
	global_atomic_add v1, v31, v1, s[22:23] offset:384 glc
.LBB14_379:                             ;   in Loop: Header=BB14_158 Depth=2
	s_or_b64 exec, exec, s[58:59]
	s_andn2_b64 s[52:53], s[52:53], exec
	s_and_b64 s[58:59], s[44:45], exec
	s_waitcnt vmcnt(0)
	v_readfirstlane_b32 s42, v1
	s_or_b64 s[52:53], s[52:53], s[58:59]
	s_andn2_b64 s[56:57], s[56:57], exec
	s_and_b64 s[58:59], s[24:25], exec
	v_add_u32_e32 v0, s42, v0
	s_or_b64 s[56:57], s[56:57], s[58:59]
	s_or_b64 exec, exec, s[54:55]
	s_and_saveexec_b64 s[54:55], s[56:57]
	s_cbranch_execnz .LBB14_375
.LBB14_380:                             ;   in Loop: Header=BB14_158 Depth=2
	s_or_b64 exec, exec, s[54:55]
	s_and_saveexec_b64 s[54:55], s[52:53]
	s_cbranch_execz .LBB14_382
.LBB14_381:                             ;   in Loop: Header=BB14_158 Depth=2
	v_ashrrev_i32_e32 v1, 31, v0
	v_lshlrev_b64 v[0:1], 2, v[0:1]
	v_mov_b32_e32 v7, s37
	v_add_co_u32_e32 v0, vcc, s33, v0
	v_addc_co_u32_e32 v1, vcc, v7, v1, vcc
	s_waitcnt vmcnt(0)
	global_store_dword v[0:1], v6, off
.LBB14_382:                             ;   in Loop: Header=BB14_158 Depth=2
	s_or_b64 exec, exec, s[54:55]
	v_cmp_gt_i32_e32 vcc, 0, v2
	v_cndmask_b32_e64 v0, v56, 0, vcc
	v_xor_b32_e32 v1, v0, v2
	s_waitcnt vmcnt(0)
	v_add_u32_e32 v6, 2, v4
	v_cmp_ge_u32_e32 vcc, v1, v40
	s_mov_b64 s[56:57], 0
	s_mov_b64 s[52:53], 0
                                        ; implicit-def: $vgpr0
	s_and_saveexec_b64 s[54:55], vcc
	s_xor_b64 s[54:55], exec, s[54:55]
	s_cbranch_execz .LBB14_392
; %bb.383:                              ;   in Loop: Header=BB14_158 Depth=2
	v_cmp_eq_u32_e32 vcc, v1, v40
	s_mov_b64 s[58:59], 0
                                        ; implicit-def: $vgpr0
	s_and_saveexec_b64 s[52:53], vcc
	s_cbranch_execz .LBB14_389
; %bb.384:                              ;   in Loop: Header=BB14_158 Depth=2
	s_mov_b64 s[58:59], exec
	v_mbcnt_lo_u32_b32 v0, s58, 0
	v_mbcnt_hi_u32_b32 v0, s59, v0
	v_cmp_eq_u32_e32 vcc, 0, v0
                                        ; implicit-def: $vgpr1
	s_and_saveexec_b64 s[56:57], vcc
	s_cbranch_execz .LBB14_386
; %bb.385:                              ;   in Loop: Header=BB14_158 Depth=2
	s_bcnt1_i32_b64 s42, s[58:59]
	v_mov_b32_e32 v1, s42
	global_atomic_add v1, v31, v1, s[22:23] offset:512 glc
.LBB14_386:                             ;   in Loop: Header=BB14_158 Depth=2
	s_or_b64 exec, exec, s[56:57]
	s_waitcnt vmcnt(0)
	v_readfirstlane_b32 s42, v1
	v_add_u32_e32 v1, s42, v0
	v_cmp_lt_i32_e32 vcc, v1, v41
	s_mov_b64 s[56:57], 0
	s_mov_b64 s[58:59], 0
                                        ; implicit-def: $vgpr0
	s_and_saveexec_b64 s[60:61], vcc
; %bb.387:                              ;   in Loop: Header=BB14_158 Depth=2
	v_xad_u32 v0, v1, -1, s36
	s_and_b64 s[58:59], s[44:45], exec
	s_and_b64 s[56:57], s[24:25], exec
; %bb.388:                              ;   in Loop: Header=BB14_158 Depth=2
	s_or_b64 exec, exec, s[60:61]
	s_and_b64 s[58:59], s[58:59], exec
	s_and_b64 s[56:57], s[56:57], exec
.LBB14_389:                             ;   in Loop: Header=BB14_158 Depth=2
	s_or_b64 exec, exec, s[52:53]
	s_and_b64 s[52:53], s[58:59], exec
	s_and_b64 s[56:57], s[56:57], exec
	s_andn2_saveexec_b64 s[54:55], s[54:55]
	s_cbranch_execnz .LBB14_393
.LBB14_390:                             ;   in Loop: Header=BB14_158 Depth=2
	s_or_b64 exec, exec, s[54:55]
	s_and_saveexec_b64 s[54:55], s[56:57]
	s_cbranch_execz .LBB14_396
.LBB14_391:                             ;   in Loop: Header=BB14_158 Depth=2
	v_lshlrev_b64 v[6:7], 2, v[4:5]
	v_mov_b32_e32 v1, s65
	v_add_co_u32_e32 v6, vcc, s64, v6
	v_addc_co_u32_e32 v7, vcc, v1, v7, vcc
	global_load_dword v6, v[6:7], off
	s_or_b64 s[52:53], s[52:53], exec
	s_or_b64 exec, exec, s[54:55]
	s_and_saveexec_b64 s[54:55], s[52:53]
	s_cbranch_execnz .LBB14_397
	s_branch .LBB14_398
.LBB14_392:                             ;   in Loop: Header=BB14_158 Depth=2
	s_andn2_saveexec_b64 s[54:55], s[54:55]
	s_cbranch_execz .LBB14_390
.LBB14_393:                             ;   in Loop: Header=BB14_158 Depth=2
	s_mov_b64 s[60:61], exec
	v_mbcnt_lo_u32_b32 v0, s60, 0
	v_mbcnt_hi_u32_b32 v0, s61, v0
	v_cmp_eq_u32_e32 vcc, 0, v0
                                        ; implicit-def: $vgpr1
	s_and_saveexec_b64 s[58:59], vcc
	s_cbranch_execz .LBB14_395
; %bb.394:                              ;   in Loop: Header=BB14_158 Depth=2
	s_bcnt1_i32_b64 s42, s[60:61]
	v_mov_b32_e32 v1, s42
	global_atomic_add v1, v31, v1, s[22:23] offset:384 glc
.LBB14_395:                             ;   in Loop: Header=BB14_158 Depth=2
	s_or_b64 exec, exec, s[58:59]
	s_andn2_b64 s[52:53], s[52:53], exec
	s_and_b64 s[58:59], s[44:45], exec
	s_waitcnt vmcnt(0)
	v_readfirstlane_b32 s42, v1
	s_or_b64 s[52:53], s[52:53], s[58:59]
	s_andn2_b64 s[56:57], s[56:57], exec
	s_and_b64 s[58:59], s[24:25], exec
	v_add_u32_e32 v0, s42, v0
	s_or_b64 s[56:57], s[56:57], s[58:59]
	s_or_b64 exec, exec, s[54:55]
	s_and_saveexec_b64 s[54:55], s[56:57]
	s_cbranch_execnz .LBB14_391
.LBB14_396:                             ;   in Loop: Header=BB14_158 Depth=2
	s_or_b64 exec, exec, s[54:55]
	s_and_saveexec_b64 s[54:55], s[52:53]
	s_cbranch_execz .LBB14_398
.LBB14_397:                             ;   in Loop: Header=BB14_158 Depth=2
	v_ashrrev_i32_e32 v1, 31, v0
	v_lshlrev_b64 v[0:1], 2, v[0:1]
	v_mov_b32_e32 v2, s37
	v_add_co_u32_e32 v0, vcc, s33, v0
	v_addc_co_u32_e32 v1, vcc, v2, v1, vcc
	s_waitcnt vmcnt(0)
	global_store_dword v[0:1], v6, off
.LBB14_398:                             ;   in Loop: Header=BB14_158 Depth=2
	s_or_b64 exec, exec, s[54:55]
	v_cmp_gt_i32_e32 vcc, 0, v3
	v_cndmask_b32_e64 v0, v56, 0, vcc
	v_xor_b32_e32 v1, v0, v3
	v_add_u32_e32 v2, 3, v4
	v_cmp_ge_u32_e32 vcc, v1, v40
	s_mov_b64 s[56:57], 0
	s_mov_b64 s[52:53], 0
                                        ; implicit-def: $vgpr0
	s_and_saveexec_b64 s[54:55], vcc
	s_xor_b64 s[54:55], exec, s[54:55]
	s_cbranch_execz .LBB14_408
; %bb.399:                              ;   in Loop: Header=BB14_158 Depth=2
	v_cmp_eq_u32_e32 vcc, v1, v40
	s_mov_b64 s[58:59], 0
                                        ; implicit-def: $vgpr0
	s_and_saveexec_b64 s[52:53], vcc
	s_cbranch_execz .LBB14_405
; %bb.400:                              ;   in Loop: Header=BB14_158 Depth=2
	s_mov_b64 s[58:59], exec
	v_mbcnt_lo_u32_b32 v0, s58, 0
	v_mbcnt_hi_u32_b32 v0, s59, v0
	v_cmp_eq_u32_e32 vcc, 0, v0
                                        ; implicit-def: $vgpr1
	s_and_saveexec_b64 s[56:57], vcc
	s_cbranch_execz .LBB14_402
; %bb.401:                              ;   in Loop: Header=BB14_158 Depth=2
	s_bcnt1_i32_b64 s42, s[58:59]
	v_mov_b32_e32 v1, s42
	global_atomic_add v1, v31, v1, s[22:23] offset:512 glc
.LBB14_402:                             ;   in Loop: Header=BB14_158 Depth=2
	s_or_b64 exec, exec, s[56:57]
	s_waitcnt vmcnt(0)
	v_readfirstlane_b32 s42, v1
	v_add_u32_e32 v1, s42, v0
	v_cmp_lt_i32_e32 vcc, v1, v41
	s_mov_b64 s[56:57], 0
	s_mov_b64 s[58:59], 0
                                        ; implicit-def: $vgpr0
	s_and_saveexec_b64 s[60:61], vcc
; %bb.403:                              ;   in Loop: Header=BB14_158 Depth=2
	v_xad_u32 v0, v1, -1, s36
	s_and_b64 s[58:59], s[44:45], exec
	s_and_b64 s[56:57], s[24:25], exec
; %bb.404:                              ;   in Loop: Header=BB14_158 Depth=2
	s_or_b64 exec, exec, s[60:61]
	s_and_b64 s[58:59], s[58:59], exec
	s_and_b64 s[56:57], s[56:57], exec
.LBB14_405:                             ;   in Loop: Header=BB14_158 Depth=2
	s_or_b64 exec, exec, s[52:53]
	s_and_b64 s[52:53], s[58:59], exec
	s_and_b64 s[56:57], s[56:57], exec
	s_andn2_saveexec_b64 s[54:55], s[54:55]
	s_cbranch_execnz .LBB14_409
.LBB14_406:                             ;   in Loop: Header=BB14_158 Depth=2
	s_or_b64 exec, exec, s[54:55]
	s_and_saveexec_b64 s[54:55], s[56:57]
	s_cbranch_execz .LBB14_412
.LBB14_407:                             ;   in Loop: Header=BB14_158 Depth=2
	v_lshlrev_b64 v[2:3], 2, v[4:5]
	v_mov_b32_e32 v1, s67
	v_add_co_u32_e32 v2, vcc, s66, v2
	v_addc_co_u32_e32 v3, vcc, v1, v3, vcc
	global_load_dword v2, v[2:3], off
	s_or_b64 s[52:53], s[52:53], exec
	s_or_b64 exec, exec, s[54:55]
	s_and_saveexec_b64 s[54:55], s[52:53]
	s_cbranch_execz .LBB14_157
	s_branch .LBB14_413
.LBB14_408:                             ;   in Loop: Header=BB14_158 Depth=2
	s_andn2_saveexec_b64 s[54:55], s[54:55]
	s_cbranch_execz .LBB14_406
.LBB14_409:                             ;   in Loop: Header=BB14_158 Depth=2
	s_mov_b64 s[60:61], exec
	v_mbcnt_lo_u32_b32 v0, s60, 0
	v_mbcnt_hi_u32_b32 v0, s61, v0
	v_cmp_eq_u32_e32 vcc, 0, v0
                                        ; implicit-def: $vgpr1
	s_and_saveexec_b64 s[58:59], vcc
	s_cbranch_execz .LBB14_411
; %bb.410:                              ;   in Loop: Header=BB14_158 Depth=2
	s_bcnt1_i32_b64 s42, s[60:61]
	v_mov_b32_e32 v1, s42
	global_atomic_add v1, v31, v1, s[22:23] offset:384 glc
.LBB14_411:                             ;   in Loop: Header=BB14_158 Depth=2
	s_or_b64 exec, exec, s[58:59]
	s_andn2_b64 s[52:53], s[52:53], exec
	s_and_b64 s[58:59], s[44:45], exec
	s_waitcnt vmcnt(0)
	v_readfirstlane_b32 s42, v1
	s_or_b64 s[52:53], s[52:53], s[58:59]
	s_andn2_b64 s[56:57], s[56:57], exec
	s_and_b64 s[58:59], s[24:25], exec
	v_add_u32_e32 v0, s42, v0
	s_or_b64 s[56:57], s[56:57], s[58:59]
	s_or_b64 exec, exec, s[54:55]
	s_and_saveexec_b64 s[54:55], s[56:57]
	s_cbranch_execnz .LBB14_407
.LBB14_412:                             ;   in Loop: Header=BB14_158 Depth=2
	s_or_b64 exec, exec, s[54:55]
	s_and_saveexec_b64 s[54:55], s[52:53]
	s_cbranch_execz .LBB14_157
.LBB14_413:                             ;   in Loop: Header=BB14_158 Depth=2
	v_ashrrev_i32_e32 v1, 31, v0
	v_lshlrev_b64 v[0:1], 2, v[0:1]
	v_mov_b32_e32 v3, s37
	v_add_co_u32_e32 v0, vcc, s33, v0
	v_addc_co_u32_e32 v1, vcc, v3, v1, vcc
	s_waitcnt vmcnt(0)
	global_store_dword v[0:1], v2, off
	s_branch .LBB14_157
.LBB14_414:                             ;   in Loop: Header=BB14_18 Depth=1
	s_or_b64 exec, exec, s[50:51]
	s_or_b64 exec, exec, s[6:7]
	v_cmp_gt_i32_e32 vcc, s28, v42
	s_and_saveexec_b64 s[6:7], vcc
	s_cbranch_execz .LBB14_481
.LBB14_415:                             ;   in Loop: Header=BB14_18 Depth=1
	v_lshl_add_u32 v4, v42, 2, s30
	s_mov_b64 s[50:51], 0
	s_branch .LBB14_417
.LBB14_416:                             ;   in Loop: Header=BB14_417 Depth=2
	s_or_b64 exec, exec, s[54:55]
	v_add_u32_e32 v42, s26, v42
	v_cmp_le_i32_e32 vcc, s28, v42
	s_or_b64 s[50:51], vcc, s[50:51]
	v_add_u32_e32 v4, s63, v4
	s_andn2_b64 exec, exec, s[50:51]
	s_cbranch_execz .LBB14_481
.LBB14_417:                             ;   Parent Loop BB14_18 Depth=1
                                        ; =>  This Inner Loop Header: Depth=2
	v_ashrrev_i32_e32 v43, 31, v42
	v_lshlrev_b64 v[0:1], 4, v[42:43]
	s_waitcnt vmcnt(0)
	v_mov_b32_e32 v2, s68
	v_add_co_u32_e32 v0, vcc, s62, v0
	v_addc_co_u32_e32 v1, vcc, v2, v1, vcc
	global_load_dwordx4 v[0:3], v[0:1], off
	s_mov_b64 s[56:57], 0
	s_mov_b64 s[52:53], 0
                                        ; implicit-def: $vgpr6
	s_waitcnt vmcnt(0)
	v_cmp_gt_i32_e32 vcc, 0, v0
	v_cndmask_b32_e64 v5, v56, 0, vcc
	v_xor_b32_e32 v5, v5, v0
	s_waitcnt lgkmcnt(0)
	v_cmp_ge_u32_e32 vcc, v5, v40
                                        ; implicit-def: $vgpr0
	s_and_saveexec_b64 s[54:55], vcc
	s_xor_b64 s[54:55], exec, s[54:55]
	s_cbranch_execz .LBB14_427
; %bb.418:                              ;   in Loop: Header=BB14_417 Depth=2
	v_cmp_eq_u32_e32 vcc, v5, v40
	s_mov_b64 s[58:59], 0
                                        ; implicit-def: $vgpr6
	s_and_saveexec_b64 s[52:53], vcc
	s_cbranch_execz .LBB14_424
; %bb.419:                              ;   in Loop: Header=BB14_417 Depth=2
	s_mov_b64 s[58:59], exec
	v_mbcnt_lo_u32_b32 v0, s58, 0
	v_mbcnt_hi_u32_b32 v0, s59, v0
	v_cmp_eq_u32_e32 vcc, 0, v0
                                        ; implicit-def: $vgpr5
	s_and_saveexec_b64 s[56:57], vcc
	s_cbranch_execz .LBB14_421
; %bb.420:                              ;   in Loop: Header=BB14_417 Depth=2
	s_bcnt1_i32_b64 s42, s[58:59]
	v_mov_b32_e32 v5, s42
	global_atomic_add v5, v31, v5, s[22:23] offset:512 glc
.LBB14_421:                             ;   in Loop: Header=BB14_417 Depth=2
	s_or_b64 exec, exec, s[56:57]
	s_waitcnt vmcnt(0)
	v_readfirstlane_b32 s42, v5
	v_add_u32_e32 v0, s42, v0
	v_cmp_lt_i32_e32 vcc, v0, v41
	s_mov_b64 s[56:57], 0
	s_mov_b64 s[58:59], 0
                                        ; implicit-def: $vgpr6
	s_and_saveexec_b64 s[60:61], vcc
	s_xor_b64 s[60:61], exec, s[60:61]
; %bb.422:                              ;   in Loop: Header=BB14_417 Depth=2
	s_mov_b64 s[58:59], exec
	v_xad_u32 v6, v0, -1, s36
	s_and_b64 s[56:57], s[24:25], exec
; %bb.423:                              ;   in Loop: Header=BB14_417 Depth=2
	s_or_b64 exec, exec, s[60:61]
	s_and_b64 s[58:59], s[58:59], exec
	s_and_b64 s[56:57], s[56:57], exec
.LBB14_424:                             ;   in Loop: Header=BB14_417 Depth=2
	s_or_b64 exec, exec, s[52:53]
	s_and_b64 s[52:53], s[58:59], exec
	s_and_b64 s[56:57], s[56:57], exec
	v_mov_b32_e32 v0, v4
	s_andn2_saveexec_b64 s[54:55], s[54:55]
	s_cbranch_execnz .LBB14_428
.LBB14_425:                             ;   in Loop: Header=BB14_417 Depth=2
	s_or_b64 exec, exec, s[54:55]
	v_ashrrev_i32_e32 v5, 31, v4
	s_and_saveexec_b64 s[54:55], s[56:57]
	s_cbranch_execz .LBB14_431
.LBB14_426:                             ;   in Loop: Header=BB14_417 Depth=2
	v_lshlrev_b64 v[8:9], 2, v[4:5]
	v_mov_b32_e32 v0, s21
	v_add_co_u32_e32 v8, vcc, s20, v8
	v_addc_co_u32_e32 v9, vcc, v0, v9, vcc
	global_load_dword v0, v[8:9], off
	s_or_b64 s[52:53], s[52:53], exec
	s_or_b64 exec, exec, s[54:55]
	s_and_saveexec_b64 s[54:55], s[52:53]
	s_cbranch_execnz .LBB14_432
	s_branch .LBB14_433
.LBB14_427:                             ;   in Loop: Header=BB14_417 Depth=2
	s_andn2_saveexec_b64 s[54:55], s[54:55]
	s_cbranch_execz .LBB14_425
.LBB14_428:                             ;   in Loop: Header=BB14_417 Depth=2
	s_mov_b64 s[60:61], exec
	v_mbcnt_lo_u32_b32 v0, s60, 0
	v_mbcnt_hi_u32_b32 v0, s61, v0
	v_cmp_eq_u32_e32 vcc, 0, v0
                                        ; implicit-def: $vgpr5
	s_and_saveexec_b64 s[58:59], vcc
	s_cbranch_execz .LBB14_430
; %bb.429:                              ;   in Loop: Header=BB14_417 Depth=2
	s_bcnt1_i32_b64 s42, s[60:61]
	v_mov_b32_e32 v5, s42
	global_atomic_add v5, v31, v5, s[22:23] offset:384 glc
.LBB14_430:                             ;   in Loop: Header=BB14_417 Depth=2
	s_or_b64 exec, exec, s[58:59]
	s_andn2_b64 s[52:53], s[52:53], exec
	s_and_b64 s[58:59], s[44:45], exec
	s_waitcnt vmcnt(0)
	v_readfirstlane_b32 s42, v5
	s_or_b64 s[52:53], s[52:53], s[58:59]
	s_andn2_b64 s[56:57], s[56:57], exec
	s_and_b64 s[58:59], s[24:25], exec
	v_add_u32_e32 v6, s42, v0
	s_or_b64 s[56:57], s[56:57], s[58:59]
	v_mov_b32_e32 v0, v4
	s_or_b64 exec, exec, s[54:55]
	v_ashrrev_i32_e32 v5, 31, v4
	s_and_saveexec_b64 s[54:55], s[56:57]
	s_cbranch_execnz .LBB14_426
.LBB14_431:                             ;   in Loop: Header=BB14_417 Depth=2
	s_or_b64 exec, exec, s[54:55]
	s_and_saveexec_b64 s[54:55], s[52:53]
	s_cbranch_execz .LBB14_433
.LBB14_432:                             ;   in Loop: Header=BB14_417 Depth=2
	v_ashrrev_i32_e32 v7, 31, v6
	v_lshlrev_b64 v[6:7], 2, v[6:7]
	v_mov_b32_e32 v8, s37
	v_add_co_u32_e32 v6, vcc, s33, v6
	v_addc_co_u32_e32 v7, vcc, v8, v7, vcc
	s_waitcnt vmcnt(0)
	global_store_dword v[6:7], v0, off
.LBB14_433:                             ;   in Loop: Header=BB14_417 Depth=2
	s_or_b64 exec, exec, s[54:55]
	v_cmp_gt_i32_e32 vcc, 0, v1
	s_waitcnt vmcnt(0)
	v_cndmask_b32_e64 v0, v56, 0, vcc
	v_xor_b32_e32 v1, v0, v1
	v_add_u32_e32 v6, 1, v4
	v_cmp_ge_u32_e32 vcc, v1, v40
	s_mov_b64 s[56:57], 0
	s_mov_b64 s[52:53], 0
                                        ; implicit-def: $vgpr0
	s_and_saveexec_b64 s[54:55], vcc
	s_xor_b64 s[54:55], exec, s[54:55]
	s_cbranch_execz .LBB14_443
; %bb.434:                              ;   in Loop: Header=BB14_417 Depth=2
	v_cmp_eq_u32_e32 vcc, v1, v40
	s_mov_b64 s[58:59], 0
                                        ; implicit-def: $vgpr0
	s_and_saveexec_b64 s[52:53], vcc
	s_cbranch_execz .LBB14_440
; %bb.435:                              ;   in Loop: Header=BB14_417 Depth=2
	s_mov_b64 s[58:59], exec
	v_mbcnt_lo_u32_b32 v0, s58, 0
	v_mbcnt_hi_u32_b32 v0, s59, v0
	v_cmp_eq_u32_e32 vcc, 0, v0
                                        ; implicit-def: $vgpr1
	s_and_saveexec_b64 s[56:57], vcc
	s_cbranch_execz .LBB14_437
; %bb.436:                              ;   in Loop: Header=BB14_417 Depth=2
	s_bcnt1_i32_b64 s42, s[58:59]
	v_mov_b32_e32 v1, s42
	global_atomic_add v1, v31, v1, s[22:23] offset:512 glc
.LBB14_437:                             ;   in Loop: Header=BB14_417 Depth=2
	s_or_b64 exec, exec, s[56:57]
	s_waitcnt vmcnt(0)
	v_readfirstlane_b32 s42, v1
	v_add_u32_e32 v1, s42, v0
	v_cmp_lt_i32_e32 vcc, v1, v41
	s_mov_b64 s[56:57], 0
	s_mov_b64 s[58:59], 0
                                        ; implicit-def: $vgpr0
	s_and_saveexec_b64 s[60:61], vcc
; %bb.438:                              ;   in Loop: Header=BB14_417 Depth=2
	v_xad_u32 v0, v1, -1, s36
	s_and_b64 s[58:59], s[44:45], exec
	s_and_b64 s[56:57], s[24:25], exec
; %bb.439:                              ;   in Loop: Header=BB14_417 Depth=2
	s_or_b64 exec, exec, s[60:61]
	s_and_b64 s[58:59], s[58:59], exec
	s_and_b64 s[56:57], s[56:57], exec
.LBB14_440:                             ;   in Loop: Header=BB14_417 Depth=2
	s_or_b64 exec, exec, s[52:53]
	s_and_b64 s[52:53], s[58:59], exec
	s_and_b64 s[56:57], s[56:57], exec
	s_andn2_saveexec_b64 s[54:55], s[54:55]
	s_cbranch_execnz .LBB14_444
.LBB14_441:                             ;   in Loop: Header=BB14_417 Depth=2
	s_or_b64 exec, exec, s[54:55]
	s_and_saveexec_b64 s[54:55], s[56:57]
	s_cbranch_execz .LBB14_447
.LBB14_442:                             ;   in Loop: Header=BB14_417 Depth=2
	v_lshlrev_b64 v[6:7], 2, v[4:5]
	v_mov_b32_e32 v1, s31
	v_add_co_u32_e32 v6, vcc, s27, v6
	v_addc_co_u32_e32 v7, vcc, v1, v7, vcc
	global_load_dword v6, v[6:7], off
	s_or_b64 s[52:53], s[52:53], exec
	s_or_b64 exec, exec, s[54:55]
	s_and_saveexec_b64 s[54:55], s[52:53]
	s_cbranch_execnz .LBB14_448
	s_branch .LBB14_449
.LBB14_443:                             ;   in Loop: Header=BB14_417 Depth=2
	s_andn2_saveexec_b64 s[54:55], s[54:55]
	s_cbranch_execz .LBB14_441
.LBB14_444:                             ;   in Loop: Header=BB14_417 Depth=2
	s_mov_b64 s[60:61], exec
	v_mbcnt_lo_u32_b32 v0, s60, 0
	v_mbcnt_hi_u32_b32 v0, s61, v0
	v_cmp_eq_u32_e32 vcc, 0, v0
                                        ; implicit-def: $vgpr1
	s_and_saveexec_b64 s[58:59], vcc
	s_cbranch_execz .LBB14_446
; %bb.445:                              ;   in Loop: Header=BB14_417 Depth=2
	s_bcnt1_i32_b64 s42, s[60:61]
	v_mov_b32_e32 v1, s42
	global_atomic_add v1, v31, v1, s[22:23] offset:384 glc
.LBB14_446:                             ;   in Loop: Header=BB14_417 Depth=2
	s_or_b64 exec, exec, s[58:59]
	s_waitcnt vmcnt(0)
	v_readfirstlane_b32 s42, v1
	s_andn2_b64 s[56:57], s[56:57], exec
	s_and_b64 s[58:59], s[24:25], exec
	v_add_u32_e32 v0, s42, v0
	s_or_b64 s[52:53], s[52:53], exec
	s_or_b64 s[56:57], s[56:57], s[58:59]
	s_or_b64 exec, exec, s[54:55]
	s_and_saveexec_b64 s[54:55], s[56:57]
	s_cbranch_execnz .LBB14_442
.LBB14_447:                             ;   in Loop: Header=BB14_417 Depth=2
	s_or_b64 exec, exec, s[54:55]
	s_and_saveexec_b64 s[54:55], s[52:53]
	s_cbranch_execz .LBB14_449
.LBB14_448:                             ;   in Loop: Header=BB14_417 Depth=2
	v_ashrrev_i32_e32 v1, 31, v0
	v_lshlrev_b64 v[0:1], 2, v[0:1]
	v_mov_b32_e32 v7, s37
	v_add_co_u32_e32 v0, vcc, s33, v0
	v_addc_co_u32_e32 v1, vcc, v7, v1, vcc
	s_waitcnt vmcnt(0)
	global_store_dword v[0:1], v6, off
.LBB14_449:                             ;   in Loop: Header=BB14_417 Depth=2
	s_or_b64 exec, exec, s[54:55]
	v_cmp_gt_i32_e32 vcc, 0, v2
	v_cndmask_b32_e64 v0, v56, 0, vcc
	v_xor_b32_e32 v1, v0, v2
	s_waitcnt vmcnt(0)
	v_add_u32_e32 v6, 2, v4
	v_cmp_ge_u32_e32 vcc, v1, v40
	s_mov_b64 s[56:57], 0
	s_mov_b64 s[52:53], 0
                                        ; implicit-def: $vgpr0
	s_and_saveexec_b64 s[54:55], vcc
	s_xor_b64 s[54:55], exec, s[54:55]
	s_cbranch_execz .LBB14_459
; %bb.450:                              ;   in Loop: Header=BB14_417 Depth=2
	v_cmp_eq_u32_e32 vcc, v1, v40
	s_mov_b64 s[58:59], 0
                                        ; implicit-def: $vgpr0
	s_and_saveexec_b64 s[52:53], vcc
	s_cbranch_execz .LBB14_456
; %bb.451:                              ;   in Loop: Header=BB14_417 Depth=2
	s_mov_b64 s[58:59], exec
	v_mbcnt_lo_u32_b32 v0, s58, 0
	v_mbcnt_hi_u32_b32 v0, s59, v0
	v_cmp_eq_u32_e32 vcc, 0, v0
                                        ; implicit-def: $vgpr1
	s_and_saveexec_b64 s[56:57], vcc
	s_cbranch_execz .LBB14_453
; %bb.452:                              ;   in Loop: Header=BB14_417 Depth=2
	s_bcnt1_i32_b64 s42, s[58:59]
	v_mov_b32_e32 v1, s42
	global_atomic_add v1, v31, v1, s[22:23] offset:512 glc
.LBB14_453:                             ;   in Loop: Header=BB14_417 Depth=2
	s_or_b64 exec, exec, s[56:57]
	s_waitcnt vmcnt(0)
	v_readfirstlane_b32 s42, v1
	v_add_u32_e32 v1, s42, v0
	v_cmp_lt_i32_e32 vcc, v1, v41
	s_mov_b64 s[56:57], 0
	s_mov_b64 s[58:59], 0
                                        ; implicit-def: $vgpr0
	s_and_saveexec_b64 s[60:61], vcc
; %bb.454:                              ;   in Loop: Header=BB14_417 Depth=2
	v_xad_u32 v0, v1, -1, s36
	s_and_b64 s[58:59], s[44:45], exec
	s_and_b64 s[56:57], s[24:25], exec
; %bb.455:                              ;   in Loop: Header=BB14_417 Depth=2
	s_or_b64 exec, exec, s[60:61]
	s_and_b64 s[58:59], s[58:59], exec
	s_and_b64 s[56:57], s[56:57], exec
.LBB14_456:                             ;   in Loop: Header=BB14_417 Depth=2
	s_or_b64 exec, exec, s[52:53]
	s_and_b64 s[52:53], s[58:59], exec
	s_and_b64 s[56:57], s[56:57], exec
	s_andn2_saveexec_b64 s[54:55], s[54:55]
	s_cbranch_execnz .LBB14_460
.LBB14_457:                             ;   in Loop: Header=BB14_417 Depth=2
	s_or_b64 exec, exec, s[54:55]
	s_and_saveexec_b64 s[54:55], s[56:57]
	s_cbranch_execz .LBB14_463
.LBB14_458:                             ;   in Loop: Header=BB14_417 Depth=2
	v_lshlrev_b64 v[6:7], 2, v[4:5]
	v_mov_b32_e32 v1, s65
	v_add_co_u32_e32 v6, vcc, s64, v6
	v_addc_co_u32_e32 v7, vcc, v1, v7, vcc
	global_load_dword v6, v[6:7], off
	s_or_b64 s[52:53], s[52:53], exec
	s_or_b64 exec, exec, s[54:55]
	s_and_saveexec_b64 s[54:55], s[52:53]
	s_cbranch_execnz .LBB14_464
	s_branch .LBB14_465
.LBB14_459:                             ;   in Loop: Header=BB14_417 Depth=2
	s_andn2_saveexec_b64 s[54:55], s[54:55]
	s_cbranch_execz .LBB14_457
.LBB14_460:                             ;   in Loop: Header=BB14_417 Depth=2
	s_mov_b64 s[60:61], exec
	v_mbcnt_lo_u32_b32 v0, s60, 0
	v_mbcnt_hi_u32_b32 v0, s61, v0
	v_cmp_eq_u32_e32 vcc, 0, v0
                                        ; implicit-def: $vgpr1
	s_and_saveexec_b64 s[58:59], vcc
	s_cbranch_execz .LBB14_462
; %bb.461:                              ;   in Loop: Header=BB14_417 Depth=2
	s_bcnt1_i32_b64 s42, s[60:61]
	v_mov_b32_e32 v1, s42
	global_atomic_add v1, v31, v1, s[22:23] offset:384 glc
.LBB14_462:                             ;   in Loop: Header=BB14_417 Depth=2
	s_or_b64 exec, exec, s[58:59]
	s_waitcnt vmcnt(0)
	v_readfirstlane_b32 s42, v1
	s_andn2_b64 s[56:57], s[56:57], exec
	s_and_b64 s[58:59], s[24:25], exec
	v_add_u32_e32 v0, s42, v0
	s_or_b64 s[52:53], s[52:53], exec
	s_or_b64 s[56:57], s[56:57], s[58:59]
	s_or_b64 exec, exec, s[54:55]
	s_and_saveexec_b64 s[54:55], s[56:57]
	s_cbranch_execnz .LBB14_458
.LBB14_463:                             ;   in Loop: Header=BB14_417 Depth=2
	s_or_b64 exec, exec, s[54:55]
	s_and_saveexec_b64 s[54:55], s[52:53]
	s_cbranch_execz .LBB14_465
.LBB14_464:                             ;   in Loop: Header=BB14_417 Depth=2
	v_ashrrev_i32_e32 v1, 31, v0
	v_lshlrev_b64 v[0:1], 2, v[0:1]
	v_mov_b32_e32 v2, s37
	v_add_co_u32_e32 v0, vcc, s33, v0
	v_addc_co_u32_e32 v1, vcc, v2, v1, vcc
	s_waitcnt vmcnt(0)
	global_store_dword v[0:1], v6, off
.LBB14_465:                             ;   in Loop: Header=BB14_417 Depth=2
	s_or_b64 exec, exec, s[54:55]
	v_cmp_gt_i32_e32 vcc, 0, v3
	v_cndmask_b32_e64 v0, v56, 0, vcc
	v_xor_b32_e32 v1, v0, v3
	v_add_u32_e32 v2, 3, v4
	v_cmp_ge_u32_e32 vcc, v1, v40
	s_mov_b64 s[56:57], 0
	s_mov_b64 s[52:53], 0
                                        ; implicit-def: $vgpr0
	s_and_saveexec_b64 s[54:55], vcc
	s_xor_b64 s[54:55], exec, s[54:55]
	s_cbranch_execz .LBB14_475
; %bb.466:                              ;   in Loop: Header=BB14_417 Depth=2
	v_cmp_eq_u32_e32 vcc, v1, v40
	s_mov_b64 s[58:59], 0
                                        ; implicit-def: $vgpr0
	s_and_saveexec_b64 s[52:53], vcc
	s_cbranch_execz .LBB14_472
; %bb.467:                              ;   in Loop: Header=BB14_417 Depth=2
	s_mov_b64 s[58:59], exec
	v_mbcnt_lo_u32_b32 v0, s58, 0
	v_mbcnt_hi_u32_b32 v0, s59, v0
	v_cmp_eq_u32_e32 vcc, 0, v0
                                        ; implicit-def: $vgpr1
	s_and_saveexec_b64 s[56:57], vcc
	s_cbranch_execz .LBB14_469
; %bb.468:                              ;   in Loop: Header=BB14_417 Depth=2
	s_bcnt1_i32_b64 s42, s[58:59]
	v_mov_b32_e32 v1, s42
	global_atomic_add v1, v31, v1, s[22:23] offset:512 glc
.LBB14_469:                             ;   in Loop: Header=BB14_417 Depth=2
	s_or_b64 exec, exec, s[56:57]
	s_waitcnt vmcnt(0)
	v_readfirstlane_b32 s42, v1
	v_add_u32_e32 v1, s42, v0
	v_cmp_lt_i32_e32 vcc, v1, v41
	s_mov_b64 s[56:57], 0
	s_mov_b64 s[58:59], 0
                                        ; implicit-def: $vgpr0
	s_and_saveexec_b64 s[60:61], vcc
; %bb.470:                              ;   in Loop: Header=BB14_417 Depth=2
	v_xad_u32 v0, v1, -1, s36
	s_and_b64 s[58:59], s[44:45], exec
	s_and_b64 s[56:57], s[24:25], exec
; %bb.471:                              ;   in Loop: Header=BB14_417 Depth=2
	s_or_b64 exec, exec, s[60:61]
	s_and_b64 s[58:59], s[58:59], exec
	s_and_b64 s[56:57], s[56:57], exec
.LBB14_472:                             ;   in Loop: Header=BB14_417 Depth=2
	s_or_b64 exec, exec, s[52:53]
	s_and_b64 s[52:53], s[58:59], exec
	s_and_b64 s[56:57], s[56:57], exec
	s_andn2_saveexec_b64 s[54:55], s[54:55]
	s_cbranch_execnz .LBB14_476
.LBB14_473:                             ;   in Loop: Header=BB14_417 Depth=2
	s_or_b64 exec, exec, s[54:55]
	s_and_saveexec_b64 s[54:55], s[56:57]
	s_cbranch_execz .LBB14_479
.LBB14_474:                             ;   in Loop: Header=BB14_417 Depth=2
	v_lshlrev_b64 v[2:3], 2, v[4:5]
	v_mov_b32_e32 v1, s67
	v_add_co_u32_e32 v2, vcc, s66, v2
	v_addc_co_u32_e32 v3, vcc, v1, v3, vcc
	global_load_dword v2, v[2:3], off
	s_or_b64 s[52:53], s[52:53], exec
	s_or_b64 exec, exec, s[54:55]
	s_and_saveexec_b64 s[54:55], s[52:53]
	s_cbranch_execz .LBB14_416
	s_branch .LBB14_480
.LBB14_475:                             ;   in Loop: Header=BB14_417 Depth=2
	s_andn2_saveexec_b64 s[54:55], s[54:55]
	s_cbranch_execz .LBB14_473
.LBB14_476:                             ;   in Loop: Header=BB14_417 Depth=2
	s_mov_b64 s[60:61], exec
	v_mbcnt_lo_u32_b32 v0, s60, 0
	v_mbcnt_hi_u32_b32 v0, s61, v0
	v_cmp_eq_u32_e32 vcc, 0, v0
                                        ; implicit-def: $vgpr1
	s_and_saveexec_b64 s[58:59], vcc
	s_cbranch_execz .LBB14_478
; %bb.477:                              ;   in Loop: Header=BB14_417 Depth=2
	s_bcnt1_i32_b64 s42, s[60:61]
	v_mov_b32_e32 v1, s42
	global_atomic_add v1, v31, v1, s[22:23] offset:384 glc
.LBB14_478:                             ;   in Loop: Header=BB14_417 Depth=2
	s_or_b64 exec, exec, s[58:59]
	s_waitcnt vmcnt(0)
	v_readfirstlane_b32 s42, v1
	s_andn2_b64 s[56:57], s[56:57], exec
	s_and_b64 s[58:59], s[24:25], exec
	v_add_u32_e32 v0, s42, v0
	s_or_b64 s[52:53], s[52:53], exec
	s_or_b64 s[56:57], s[56:57], s[58:59]
	s_or_b64 exec, exec, s[54:55]
	s_and_saveexec_b64 s[54:55], s[56:57]
	s_cbranch_execnz .LBB14_474
.LBB14_479:                             ;   in Loop: Header=BB14_417 Depth=2
	s_or_b64 exec, exec, s[54:55]
	s_and_saveexec_b64 s[54:55], s[52:53]
	s_cbranch_execz .LBB14_416
.LBB14_480:                             ;   in Loop: Header=BB14_417 Depth=2
	v_ashrrev_i32_e32 v1, 31, v0
	v_lshlrev_b64 v[0:1], 2, v[0:1]
	v_mov_b32_e32 v3, s37
	v_add_co_u32_e32 v0, vcc, s33, v0
	v_addc_co_u32_e32 v1, vcc, v3, v1, vcc
	s_waitcnt vmcnt(0)
	global_store_dword v[0:1], v2, off
	s_branch .LBB14_416
.LBB14_481:                             ;   in Loop: Header=BB14_18 Depth=1
	s_or_b64 exec, exec, s[6:7]
	s_and_saveexec_b64 s[6:7], s[2:3]
	s_cbranch_execz .LBB14_498
; %bb.482:                              ;   in Loop: Header=BB14_18 Depth=1
	global_load_dword v0, v[20:21], off
	s_mov_b64 s[54:55], 0
	s_mov_b64 s[52:53], 0
                                        ; implicit-def: $vgpr2
	s_waitcnt vmcnt(0)
	v_cmp_gt_i32_e32 vcc, 0, v0
	v_cndmask_b32_e64 v1, v56, 0, vcc
	v_xor_b32_e32 v1, v1, v0
	s_waitcnt lgkmcnt(0)
	v_cmp_ge_u32_e32 vcc, v1, v40
                                        ; implicit-def: $vgpr0
	s_and_saveexec_b64 s[50:51], vcc
	s_xor_b64 s[50:51], exec, s[50:51]
	s_cbranch_execz .LBB14_492
; %bb.483:                              ;   in Loop: Header=BB14_18 Depth=1
	v_cmp_eq_u32_e32 vcc, v1, v40
	s_mov_b64 s[56:57], 0
                                        ; implicit-def: $vgpr0
	s_and_saveexec_b64 s[52:53], vcc
	s_cbranch_execz .LBB14_489
; %bb.484:                              ;   in Loop: Header=BB14_18 Depth=1
	s_mov_b64 s[56:57], exec
	v_mbcnt_lo_u32_b32 v0, s56, 0
	v_mbcnt_hi_u32_b32 v0, s57, v0
	v_cmp_eq_u32_e32 vcc, 0, v0
                                        ; implicit-def: $vgpr1
	s_and_saveexec_b64 s[54:55], vcc
	s_cbranch_execz .LBB14_486
; %bb.485:                              ;   in Loop: Header=BB14_18 Depth=1
	s_bcnt1_i32_b64 s42, s[56:57]
	v_mov_b32_e32 v1, s42
	global_atomic_add v1, v31, v1, s[22:23] offset:512 glc
.LBB14_486:                             ;   in Loop: Header=BB14_18 Depth=1
	s_or_b64 exec, exec, s[54:55]
	s_waitcnt vmcnt(0)
	v_readfirstlane_b32 s42, v1
	v_add_u32_e32 v1, s42, v0
	v_cmp_lt_i32_e32 vcc, v1, v41
	s_mov_b64 s[54:55], 0
	s_mov_b64 s[56:57], 0
                                        ; implicit-def: $vgpr0
	s_and_saveexec_b64 s[58:59], vcc
	s_xor_b64 s[58:59], exec, s[58:59]
; %bb.487:                              ;   in Loop: Header=BB14_18 Depth=1
	v_xad_u32 v0, v1, -1, s36
	s_and_b64 s[56:57], s[44:45], exec
	s_and_b64 s[54:55], s[24:25], exec
; %bb.488:                              ;   in Loop: Header=BB14_18 Depth=1
	s_or_b64 exec, exec, s[58:59]
	s_and_b64 s[56:57], s[56:57], exec
	s_and_b64 s[54:55], s[54:55], exec
.LBB14_489:                             ;   in Loop: Header=BB14_18 Depth=1
	s_or_b64 exec, exec, s[52:53]
	s_and_b64 s[52:53], s[56:57], exec
	s_and_b64 s[54:55], s[54:55], exec
	v_mov_b32_e32 v2, v14
	s_andn2_saveexec_b64 s[50:51], s[50:51]
	s_cbranch_execnz .LBB14_493
.LBB14_490:                             ;   in Loop: Header=BB14_18 Depth=1
	s_or_b64 exec, exec, s[50:51]
	s_and_saveexec_b64 s[50:51], s[54:55]
	s_cbranch_execz .LBB14_496
.LBB14_491:                             ;   in Loop: Header=BB14_18 Depth=1
	global_load_dword v2, v[22:23], off
	s_or_b64 s[52:53], s[52:53], exec
	s_or_b64 exec, exec, s[50:51]
	s_and_b64 exec, exec, s[52:53]
	s_cbranch_execnz .LBB14_497
	s_branch .LBB14_498
.LBB14_492:                             ;   in Loop: Header=BB14_18 Depth=1
	s_andn2_saveexec_b64 s[50:51], s[50:51]
	s_cbranch_execz .LBB14_490
.LBB14_493:                             ;   in Loop: Header=BB14_18 Depth=1
	s_mov_b64 s[58:59], exec
	v_mbcnt_lo_u32_b32 v0, s58, 0
	v_mbcnt_hi_u32_b32 v0, s59, v0
	v_cmp_eq_u32_e32 vcc, 0, v0
                                        ; implicit-def: $vgpr1
	s_and_saveexec_b64 s[56:57], vcc
	s_cbranch_execz .LBB14_495
; %bb.494:                              ;   in Loop: Header=BB14_18 Depth=1
	s_bcnt1_i32_b64 s42, s[58:59]
	v_mov_b32_e32 v1, s42
	global_atomic_add v1, v31, v1, s[22:23] offset:384 glc
.LBB14_495:                             ;   in Loop: Header=BB14_18 Depth=1
	s_or_b64 exec, exec, s[56:57]
	s_andn2_b64 s[52:53], s[52:53], exec
	s_and_b64 s[56:57], s[44:45], exec
	s_waitcnt vmcnt(0)
	v_readfirstlane_b32 s42, v1
	s_or_b64 s[52:53], s[52:53], s[56:57]
	s_andn2_b64 s[54:55], s[54:55], exec
	s_and_b64 s[56:57], s[24:25], exec
	v_add_u32_e32 v0, s42, v0
	s_or_b64 s[54:55], s[54:55], s[56:57]
	v_mov_b32_e32 v2, v14
	s_or_b64 exec, exec, s[50:51]
	s_and_saveexec_b64 s[50:51], s[54:55]
	s_cbranch_execnz .LBB14_491
.LBB14_496:                             ;   in Loop: Header=BB14_18 Depth=1
	s_or_b64 exec, exec, s[50:51]
	s_and_b64 exec, exec, s[52:53]
	s_cbranch_execz .LBB14_498
.LBB14_497:                             ;   in Loop: Header=BB14_18 Depth=1
	v_ashrrev_i32_e32 v1, 31, v0
	v_lshlrev_b64 v[0:1], 2, v[0:1]
	v_mov_b32_e32 v3, s37
	v_add_co_u32_e32 v0, vcc, s33, v0
	v_addc_co_u32_e32 v1, vcc, v3, v1, vcc
	s_waitcnt vmcnt(0)
	global_store_dword v[0:1], v2, off
.LBB14_498:                             ;   in Loop: Header=BB14_18 Depth=1
	s_or_b64 exec, exec, s[6:7]
	s_and_saveexec_b64 s[6:7], s[0:1]
	s_cbranch_execz .LBB14_515
; %bb.499:                              ;   in Loop: Header=BB14_18 Depth=1
	global_load_dword v0, v[18:19], off
	s_mov_b64 s[54:55], 0
	s_mov_b64 s[52:53], 0
                                        ; implicit-def: $vgpr2
	s_waitcnt vmcnt(0)
	v_cmp_gt_i32_e32 vcc, 0, v0
	v_cndmask_b32_e64 v1, v56, 0, vcc
	v_xor_b32_e32 v1, v1, v0
	s_waitcnt lgkmcnt(0)
	v_cmp_ge_u32_e32 vcc, v1, v40
                                        ; implicit-def: $vgpr0
	s_and_saveexec_b64 s[50:51], vcc
	s_xor_b64 s[50:51], exec, s[50:51]
	s_cbranch_execz .LBB14_509
; %bb.500:                              ;   in Loop: Header=BB14_18 Depth=1
	v_cmp_eq_u32_e32 vcc, v1, v40
	s_mov_b64 s[56:57], 0
                                        ; implicit-def: $vgpr0
	s_and_saveexec_b64 s[52:53], vcc
	s_cbranch_execz .LBB14_506
; %bb.501:                              ;   in Loop: Header=BB14_18 Depth=1
	s_mov_b64 s[56:57], exec
	v_mbcnt_lo_u32_b32 v0, s56, 0
	v_mbcnt_hi_u32_b32 v0, s57, v0
	v_cmp_eq_u32_e32 vcc, 0, v0
                                        ; implicit-def: $vgpr1
	s_and_saveexec_b64 s[54:55], vcc
	s_cbranch_execz .LBB14_503
; %bb.502:                              ;   in Loop: Header=BB14_18 Depth=1
	s_bcnt1_i32_b64 s42, s[56:57]
	v_mov_b32_e32 v1, s42
	global_atomic_add v1, v31, v1, s[22:23] offset:512 glc
.LBB14_503:                             ;   in Loop: Header=BB14_18 Depth=1
	s_or_b64 exec, exec, s[54:55]
	s_waitcnt vmcnt(0)
	v_readfirstlane_b32 s42, v1
	v_add_u32_e32 v1, s42, v0
	v_cmp_lt_i32_e32 vcc, v1, v41
	s_mov_b64 s[54:55], 0
	s_mov_b64 s[56:57], 0
                                        ; implicit-def: $vgpr0
	s_and_saveexec_b64 s[58:59], vcc
	s_xor_b64 s[58:59], exec, s[58:59]
; %bb.504:                              ;   in Loop: Header=BB14_18 Depth=1
	v_xad_u32 v0, v1, -1, s36
	s_and_b64 s[56:57], s[44:45], exec
	s_and_b64 s[54:55], s[24:25], exec
; %bb.505:                              ;   in Loop: Header=BB14_18 Depth=1
	s_or_b64 exec, exec, s[58:59]
	s_and_b64 s[56:57], s[56:57], exec
	s_and_b64 s[54:55], s[54:55], exec
.LBB14_506:                             ;   in Loop: Header=BB14_18 Depth=1
	s_or_b64 exec, exec, s[52:53]
	s_and_b64 s[52:53], s[56:57], exec
	s_and_b64 s[54:55], s[54:55], exec
	v_mov_b32_e32 v2, v12
	s_andn2_saveexec_b64 s[50:51], s[50:51]
	s_cbranch_execnz .LBB14_510
.LBB14_507:                             ;   in Loop: Header=BB14_18 Depth=1
	s_or_b64 exec, exec, s[50:51]
	s_and_saveexec_b64 s[50:51], s[54:55]
	s_cbranch_execz .LBB14_513
.LBB14_508:                             ;   in Loop: Header=BB14_18 Depth=1
	global_load_dword v2, v[16:17], off
	s_or_b64 s[52:53], s[52:53], exec
	s_or_b64 exec, exec, s[50:51]
	s_and_b64 exec, exec, s[52:53]
	s_cbranch_execnz .LBB14_514
	s_branch .LBB14_515
.LBB14_509:                             ;   in Loop: Header=BB14_18 Depth=1
	s_andn2_saveexec_b64 s[50:51], s[50:51]
	s_cbranch_execz .LBB14_507
.LBB14_510:                             ;   in Loop: Header=BB14_18 Depth=1
	s_mov_b64 s[58:59], exec
	v_mbcnt_lo_u32_b32 v0, s58, 0
	v_mbcnt_hi_u32_b32 v0, s59, v0
	v_cmp_eq_u32_e32 vcc, 0, v0
                                        ; implicit-def: $vgpr1
	s_and_saveexec_b64 s[56:57], vcc
	s_cbranch_execz .LBB14_512
; %bb.511:                              ;   in Loop: Header=BB14_18 Depth=1
	s_bcnt1_i32_b64 s42, s[58:59]
	v_mov_b32_e32 v1, s42
	global_atomic_add v1, v31, v1, s[22:23] offset:384 glc
.LBB14_512:                             ;   in Loop: Header=BB14_18 Depth=1
	s_or_b64 exec, exec, s[56:57]
	s_andn2_b64 s[52:53], s[52:53], exec
	s_and_b64 s[56:57], s[44:45], exec
	s_waitcnt vmcnt(0)
	v_readfirstlane_b32 s42, v1
	s_or_b64 s[52:53], s[52:53], s[56:57]
	s_andn2_b64 s[54:55], s[54:55], exec
	s_and_b64 s[56:57], s[24:25], exec
	v_add_u32_e32 v0, s42, v0
	s_or_b64 s[54:55], s[54:55], s[56:57]
	v_mov_b32_e32 v2, v12
	s_or_b64 exec, exec, s[50:51]
	s_and_saveexec_b64 s[50:51], s[54:55]
	s_cbranch_execnz .LBB14_508
.LBB14_513:                             ;   in Loop: Header=BB14_18 Depth=1
	s_or_b64 exec, exec, s[50:51]
	s_and_b64 exec, exec, s[52:53]
	s_cbranch_execz .LBB14_515
.LBB14_514:                             ;   in Loop: Header=BB14_18 Depth=1
	v_ashrrev_i32_e32 v1, 31, v0
	v_lshlrev_b64 v[0:1], 2, v[0:1]
	v_mov_b32_e32 v3, s37
	v_add_co_u32_e32 v0, vcc, s33, v0
	v_addc_co_u32_e32 v1, vcc, v3, v1, vcc
	s_waitcnt vmcnt(0)
	global_store_dword v[0:1], v2, off
.LBB14_515:                             ;   in Loop: Header=BB14_18 Depth=1
	s_or_b64 exec, exec, s[6:7]
.LBB14_516:                             ;   in Loop: Header=BB14_18 Depth=1
	s_add_i32 s89, s89, 1
	s_add_u32 s48, s48, 0x1000
	s_addc_u32 s49, s49, 0
	v_add_co_u32_e32 v38, vcc, 0x1000, v38
	s_cmp_eq_u32 s89, 4
	v_addc_co_u32_e32 v39, vcc, 0, v39, vcc
	s_mov_b64 s[6:7], -1
	s_cselect_b64 s[50:51], -1, 0
	s_branch .LBB14_17
.LBB14_517:
	s_andn2_b64 vcc, exec, s[6:7]
	s_cbranch_vccz .LBB14_675
; %bb.518:
	v_mov_b32_e32 v15, 0
	ds_read_b32 v13, v15 offset:8576
	s_add_i32 s16, s90, 32
	v_mov_b32_e32 v4, v14
	s_and_saveexec_b64 s[6:7], s[4:5]
	s_cbranch_execz .LBB14_631
; %bb.519:
	v_cndmask_b32_e64 v0, 0, 1, s[24:25]
	s_lshl_b32 s17, -1, s16
	s_mov_b64 s[8:9], 0
	v_mov_b32_e32 v30, s68
	v_mov_b32_e32 v31, s35
	v_bfrev_b32_e32 v32, -2
	v_cmp_ne_u32_e64 s[4:5], 1, v0
	s_branch .LBB14_523
.LBB14_520:                             ;   in Loop: Header=BB14_523 Depth=1
	v_ashrrev_i32_e32 v5, 31, v4
	v_lshlrev_b64 v[2:3], 2, v[4:5]
	v_mov_b32_e32 v1, s67
	v_add_co_u32_e32 v2, vcc, s66, v2
	v_addc_co_u32_e32 v3, vcc, v1, v3, vcc
	global_load_dword v1, v[2:3], off
.LBB14_521:                             ;   in Loop: Header=BB14_523 Depth=1
	v_add_u32_e32 v2, s12, v0
	v_ashrrev_i32_e32 v3, 31, v2
	v_lshlrev_b64 v[2:3], 2, v[2:3]
	v_mov_b32_e32 v0, s37
	v_add_co_u32_e32 v2, vcc, s33, v2
	v_addc_co_u32_e32 v3, vcc, v0, v3, vcc
	s_waitcnt vmcnt(0)
	global_store_dword v[2:3], v1, off
.LBB14_522:                             ;   in Loop: Header=BB14_523 Depth=1
	s_or_b64 exec, exec, s[10:11]
	v_add_u32_e32 v24, s63, v24
	v_ashrrev_i32_e32 v25, 31, v24
	v_mov_b32_e32 v0, s69
	v_add_co_u32_e32 v26, vcc, s70, v24
	v_addc_co_u32_e32 v27, vcc, v0, v25, vcc
	v_cmp_le_u64_e32 vcc, s[28:29], v[26:27]
	s_or_b64 s[8:9], vcc, s[8:9]
	s_andn2_b64 exec, exec, s[8:9]
	s_cbranch_execz .LBB14_630
.LBB14_523:                             ; =>This Inner Loop Header: Depth=1
	v_lshlrev_b64 v[0:1], 4, v[24:25]
	v_add_co_u32_e32 v4, vcc, s62, v0
	v_addc_co_u32_e32 v5, vcc, v30, v1, vcc
	global_load_dwordx4 v[0:3], v[4:5], off
	v_add_co_u32_e32 v8, vcc, s34, v4
	v_addc_co_u32_e32 v9, vcc, v5, v31, vcc
	global_load_dwordx4 v[4:7], v[8:9], off
	v_lshl_add_u32 v10, v24, 2, s30
	s_waitcnt vmcnt(1)
	v_cmp_gt_i32_e32 vcc, 0, v0
	v_cndmask_b32_e64 v11, v32, 0, vcc
	v_xor_b32_e32 v0, v11, v0
	v_and_b32_e32 v0, s17, v0
	s_waitcnt lgkmcnt(0)
	v_cmp_le_u32_e32 vcc, v0, v13
	s_and_saveexec_b64 s[10:11], vcc
	s_cbranch_execz .LBB14_529
; %bb.524:                              ;   in Loop: Header=BB14_523 Depth=1
	s_mov_b64 s[14:15], exec
	v_mbcnt_lo_u32_b32 v0, s14, 0
	v_mbcnt_hi_u32_b32 v0, s15, v0
	v_cmp_eq_u32_e32 vcc, 0, v0
                                        ; implicit-def: $vgpr11
	s_and_saveexec_b64 s[12:13], vcc
	s_cbranch_execz .LBB14_526
; %bb.525:                              ;   in Loop: Header=BB14_523 Depth=1
	s_bcnt1_i32_b64 s14, s[14:15]
	v_mov_b32_e32 v11, s14
	global_atomic_add v11, v15, v11, s[22:23] offset:384 glc
.LBB14_526:                             ;   in Loop: Header=BB14_523 Depth=1
	s_or_b64 exec, exec, s[12:13]
	s_waitcnt vmcnt(0)
	v_readfirstlane_b32 s12, v11
	s_and_b64 vcc, exec, s[4:5]
	v_mov_b32_e32 v11, v10
	s_cbranch_vccnz .LBB14_528
; %bb.527:                              ;   in Loop: Header=BB14_523 Depth=1
	v_ashrrev_i32_e32 v11, 31, v10
	v_lshlrev_b64 v[28:29], 2, v[10:11]
	v_mov_b32_e32 v11, s21
	v_add_co_u32_e32 v28, vcc, s20, v28
	v_addc_co_u32_e32 v29, vcc, v11, v29, vcc
	global_load_dword v11, v[28:29], off
.LBB14_528:                             ;   in Loop: Header=BB14_523 Depth=1
	v_add_u32_e32 v28, s12, v0
	v_ashrrev_i32_e32 v29, 31, v28
	v_lshlrev_b64 v[28:29], 2, v[28:29]
	v_mov_b32_e32 v0, s37
	v_add_co_u32_e32 v28, vcc, s33, v28
	v_addc_co_u32_e32 v29, vcc, v0, v29, vcc
	s_waitcnt vmcnt(0)
	global_store_dword v[28:29], v11, off
.LBB14_529:                             ;   in Loop: Header=BB14_523 Depth=1
	s_or_b64 exec, exec, s[10:11]
	v_cmp_gt_i32_e32 vcc, 0, v1
	v_cndmask_b32_e64 v0, v32, 0, vcc
	v_xor_b32_e32 v0, v0, v1
	v_and_b32_e32 v0, s17, v0
	v_cmp_le_u32_e32 vcc, v0, v13
	s_and_saveexec_b64 s[10:11], vcc
	s_cbranch_execz .LBB14_536
; %bb.530:                              ;   in Loop: Header=BB14_523 Depth=1
	s_mov_b64 s[14:15], exec
	v_mbcnt_lo_u32_b32 v0, s14, 0
	v_mbcnt_hi_u32_b32 v0, s15, v0
	v_cmp_eq_u32_e32 vcc, 0, v0
                                        ; implicit-def: $vgpr1
	s_and_saveexec_b64 s[12:13], vcc
	s_cbranch_execz .LBB14_532
; %bb.531:                              ;   in Loop: Header=BB14_523 Depth=1
	s_bcnt1_i32_b64 s14, s[14:15]
	v_mov_b32_e32 v1, s14
	global_atomic_add v1, v15, v1, s[22:23] offset:384 glc
.LBB14_532:                             ;   in Loop: Header=BB14_523 Depth=1
	s_or_b64 exec, exec, s[12:13]
	s_and_b64 vcc, exec, s[4:5]
	s_waitcnt vmcnt(0)
	v_readfirstlane_b32 s12, v1
	s_cbranch_vccnz .LBB14_534
; %bb.533:                              ;   in Loop: Header=BB14_523 Depth=1
	v_ashrrev_i32_e32 v11, 31, v10
	v_lshlrev_b64 v[28:29], 2, v[10:11]
	v_mov_b32_e32 v1, s31
	v_add_co_u32_e32 v28, vcc, s27, v28
	v_addc_co_u32_e32 v29, vcc, v1, v29, vcc
	global_load_dword v1, v[28:29], off
	s_branch .LBB14_535
.LBB14_534:                             ;   in Loop: Header=BB14_523 Depth=1
	v_add_u32_e32 v1, 1, v10
.LBB14_535:                             ;   in Loop: Header=BB14_523 Depth=1
	v_add_u32_e32 v28, s12, v0
	v_ashrrev_i32_e32 v29, 31, v28
	v_lshlrev_b64 v[28:29], 2, v[28:29]
	v_mov_b32_e32 v0, s37
	v_add_co_u32_e32 v28, vcc, s33, v28
	v_addc_co_u32_e32 v29, vcc, v0, v29, vcc
	s_waitcnt vmcnt(0)
	global_store_dword v[28:29], v1, off
.LBB14_536:                             ;   in Loop: Header=BB14_523 Depth=1
	s_or_b64 exec, exec, s[10:11]
	v_cmp_gt_i32_e32 vcc, 0, v2
	v_cndmask_b32_e64 v0, v32, 0, vcc
	v_xor_b32_e32 v0, v0, v2
	v_and_b32_e32 v0, s17, v0
	v_cmp_le_u32_e32 vcc, v0, v13
	s_and_saveexec_b64 s[10:11], vcc
	s_cbranch_execz .LBB14_543
; %bb.537:                              ;   in Loop: Header=BB14_523 Depth=1
	s_mov_b64 s[14:15], exec
	v_mbcnt_lo_u32_b32 v0, s14, 0
	v_mbcnt_hi_u32_b32 v0, s15, v0
	v_cmp_eq_u32_e32 vcc, 0, v0
                                        ; implicit-def: $vgpr1
	s_and_saveexec_b64 s[12:13], vcc
	s_cbranch_execz .LBB14_539
; %bb.538:                              ;   in Loop: Header=BB14_523 Depth=1
	s_bcnt1_i32_b64 s14, s[14:15]
	v_mov_b32_e32 v1, s14
	global_atomic_add v1, v15, v1, s[22:23] offset:384 glc
.LBB14_539:                             ;   in Loop: Header=BB14_523 Depth=1
	s_or_b64 exec, exec, s[12:13]
	s_and_b64 vcc, exec, s[4:5]
	s_waitcnt vmcnt(0)
	v_readfirstlane_b32 s12, v1
	s_cbranch_vccnz .LBB14_541
; %bb.540:                              ;   in Loop: Header=BB14_523 Depth=1
	v_ashrrev_i32_e32 v11, 31, v10
	v_lshlrev_b64 v[28:29], 2, v[10:11]
	v_mov_b32_e32 v1, s65
	v_add_co_u32_e32 v28, vcc, s64, v28
	v_addc_co_u32_e32 v29, vcc, v1, v29, vcc
	global_load_dword v1, v[28:29], off
	s_branch .LBB14_542
.LBB14_541:                             ;   in Loop: Header=BB14_523 Depth=1
	v_add_u32_e32 v1, 2, v10
.LBB14_542:                             ;   in Loop: Header=BB14_523 Depth=1
	v_add_u32_e32 v28, s12, v0
	v_ashrrev_i32_e32 v29, 31, v28
	v_lshlrev_b64 v[28:29], 2, v[28:29]
	v_mov_b32_e32 v0, s37
	v_add_co_u32_e32 v28, vcc, s33, v28
	v_addc_co_u32_e32 v29, vcc, v0, v29, vcc
	s_waitcnt vmcnt(0)
	global_store_dword v[28:29], v1, off
.LBB14_543:                             ;   in Loop: Header=BB14_523 Depth=1
	s_or_b64 exec, exec, s[10:11]
	v_cmp_gt_i32_e32 vcc, 0, v3
	v_cndmask_b32_e64 v0, v32, 0, vcc
	v_xor_b32_e32 v0, v0, v3
	v_and_b32_e32 v0, s17, v0
	v_cmp_le_u32_e32 vcc, v0, v13
	s_and_saveexec_b64 s[10:11], vcc
	s_cbranch_execz .LBB14_550
; %bb.544:                              ;   in Loop: Header=BB14_523 Depth=1
	s_mov_b64 s[14:15], exec
	v_mbcnt_lo_u32_b32 v0, s14, 0
	v_mbcnt_hi_u32_b32 v0, s15, v0
	v_cmp_eq_u32_e32 vcc, 0, v0
                                        ; implicit-def: $vgpr1
	s_and_saveexec_b64 s[12:13], vcc
	s_cbranch_execz .LBB14_546
; %bb.545:                              ;   in Loop: Header=BB14_523 Depth=1
	s_bcnt1_i32_b64 s14, s[14:15]
	v_mov_b32_e32 v1, s14
	global_atomic_add v1, v15, v1, s[22:23] offset:384 glc
.LBB14_546:                             ;   in Loop: Header=BB14_523 Depth=1
	s_or_b64 exec, exec, s[12:13]
	s_and_b64 vcc, exec, s[4:5]
	s_waitcnt vmcnt(0)
	v_readfirstlane_b32 s12, v1
	s_cbranch_vccnz .LBB14_548
; %bb.547:                              ;   in Loop: Header=BB14_523 Depth=1
	v_ashrrev_i32_e32 v11, 31, v10
	v_lshlrev_b64 v[2:3], 2, v[10:11]
	v_mov_b32_e32 v1, s67
	v_add_co_u32_e32 v2, vcc, s66, v2
	v_addc_co_u32_e32 v3, vcc, v1, v3, vcc
	global_load_dword v1, v[2:3], off
	s_branch .LBB14_549
.LBB14_548:                             ;   in Loop: Header=BB14_523 Depth=1
	v_add_u32_e32 v1, 3, v10
.LBB14_549:                             ;   in Loop: Header=BB14_523 Depth=1
	v_add_u32_e32 v2, s12, v0
	v_ashrrev_i32_e32 v3, 31, v2
	v_lshlrev_b64 v[2:3], 2, v[2:3]
	v_mov_b32_e32 v0, s37
	v_add_co_u32_e32 v2, vcc, s33, v2
	v_addc_co_u32_e32 v3, vcc, v0, v3, vcc
	s_waitcnt vmcnt(0)
	global_store_dword v[2:3], v1, off
.LBB14_550:                             ;   in Loop: Header=BB14_523 Depth=1
	s_or_b64 exec, exec, s[10:11]
	v_mov_b32_e32 v0, s35
	v_add_co_u32_e32 v28, vcc, s34, v8
	v_addc_co_u32_e32 v29, vcc, v9, v0, vcc
	v_lshlrev_b64 v[0:1], 4, v[26:27]
	v_mov_b32_e32 v2, s68
	v_add_co_u32_e32 v34, vcc, s62, v0
	v_addc_co_u32_e32 v35, vcc, v2, v1, vcc
	global_load_dwordx4 v[8:11], v[28:29], off
	global_load_dwordx4 v[0:3], v[34:35], off
	v_add_co_u32_e32 v25, vcc, s26, v24
	s_waitcnt vmcnt(2)
	v_cmp_gt_i32_e32 vcc, 0, v4
	v_cndmask_b32_e64 v27, v32, 0, vcc
	v_xor_b32_e32 v4, v27, v4
	v_and_b32_e32 v4, s17, v4
	v_lshl_add_u32 v28, v25, 2, s30
	v_cmp_le_u32_e32 vcc, v4, v13
	s_and_saveexec_b64 s[10:11], vcc
	s_cbranch_execz .LBB14_556
; %bb.551:                              ;   in Loop: Header=BB14_523 Depth=1
	s_mov_b64 s[14:15], exec
	v_mbcnt_lo_u32_b32 v4, s14, 0
	v_mbcnt_hi_u32_b32 v4, s15, v4
	v_cmp_eq_u32_e32 vcc, 0, v4
                                        ; implicit-def: $vgpr27
	s_and_saveexec_b64 s[12:13], vcc
	s_cbranch_execz .LBB14_553
; %bb.552:                              ;   in Loop: Header=BB14_523 Depth=1
	s_bcnt1_i32_b64 s14, s[14:15]
	v_mov_b32_e32 v27, s14
	global_atomic_add v27, v15, v27, s[22:23] offset:384 glc
.LBB14_553:                             ;   in Loop: Header=BB14_523 Depth=1
	s_or_b64 exec, exec, s[12:13]
	s_waitcnt vmcnt(0)
	v_readfirstlane_b32 s12, v27
	s_and_b64 vcc, exec, s[4:5]
	v_mov_b32_e32 v27, v28
	s_cbranch_vccnz .LBB14_555
; %bb.554:                              ;   in Loop: Header=BB14_523 Depth=1
	v_ashrrev_i32_e32 v29, 31, v28
	v_lshlrev_b64 v[34:35], 2, v[28:29]
	v_mov_b32_e32 v27, s21
	v_add_co_u32_e32 v34, vcc, s20, v34
	v_addc_co_u32_e32 v35, vcc, v27, v35, vcc
	global_load_dword v27, v[34:35], off
.LBB14_555:                             ;   in Loop: Header=BB14_523 Depth=1
	v_add_u32_e32 v34, s12, v4
	v_ashrrev_i32_e32 v35, 31, v34
	v_lshlrev_b64 v[34:35], 2, v[34:35]
	v_mov_b32_e32 v4, s37
	v_add_co_u32_e32 v34, vcc, s33, v34
	v_addc_co_u32_e32 v35, vcc, v4, v35, vcc
	s_waitcnt vmcnt(0)
	global_store_dword v[34:35], v27, off
.LBB14_556:                             ;   in Loop: Header=BB14_523 Depth=1
	s_or_b64 exec, exec, s[10:11]
	v_cmp_gt_i32_e32 vcc, 0, v5
	v_cndmask_b32_e64 v4, v32, 0, vcc
	v_xor_b32_e32 v4, v4, v5
	v_and_b32_e32 v4, s17, v4
	v_cmp_le_u32_e32 vcc, v4, v13
	s_and_saveexec_b64 s[10:11], vcc
	s_cbranch_execz .LBB14_563
; %bb.557:                              ;   in Loop: Header=BB14_523 Depth=1
	s_mov_b64 s[14:15], exec
	v_mbcnt_lo_u32_b32 v4, s14, 0
	v_mbcnt_hi_u32_b32 v4, s15, v4
	v_cmp_eq_u32_e32 vcc, 0, v4
                                        ; implicit-def: $vgpr5
	s_and_saveexec_b64 s[12:13], vcc
	s_cbranch_execz .LBB14_559
; %bb.558:                              ;   in Loop: Header=BB14_523 Depth=1
	s_bcnt1_i32_b64 s14, s[14:15]
	v_mov_b32_e32 v5, s14
	global_atomic_add v5, v15, v5, s[22:23] offset:384 glc
.LBB14_559:                             ;   in Loop: Header=BB14_523 Depth=1
	s_or_b64 exec, exec, s[12:13]
	s_and_b64 vcc, exec, s[4:5]
	s_waitcnt vmcnt(0)
	v_readfirstlane_b32 s12, v5
	s_cbranch_vccnz .LBB14_561
; %bb.560:                              ;   in Loop: Header=BB14_523 Depth=1
	v_ashrrev_i32_e32 v29, 31, v28
	v_lshlrev_b64 v[34:35], 2, v[28:29]
	v_mov_b32_e32 v5, s31
	v_add_co_u32_e32 v34, vcc, s27, v34
	v_addc_co_u32_e32 v35, vcc, v5, v35, vcc
	global_load_dword v5, v[34:35], off
	s_branch .LBB14_562
.LBB14_561:                             ;   in Loop: Header=BB14_523 Depth=1
	v_add_u32_e32 v5, 1, v28
.LBB14_562:                             ;   in Loop: Header=BB14_523 Depth=1
	v_add_u32_e32 v34, s12, v4
	v_ashrrev_i32_e32 v35, 31, v34
	v_lshlrev_b64 v[34:35], 2, v[34:35]
	v_mov_b32_e32 v4, s37
	v_add_co_u32_e32 v34, vcc, s33, v34
	v_addc_co_u32_e32 v35, vcc, v4, v35, vcc
	s_waitcnt vmcnt(0)
	global_store_dword v[34:35], v5, off
.LBB14_563:                             ;   in Loop: Header=BB14_523 Depth=1
	s_or_b64 exec, exec, s[10:11]
	v_cmp_gt_i32_e32 vcc, 0, v6
	v_cndmask_b32_e64 v4, v32, 0, vcc
	v_xor_b32_e32 v4, v4, v6
	v_and_b32_e32 v4, s17, v4
	v_cmp_le_u32_e32 vcc, v4, v13
	s_and_saveexec_b64 s[10:11], vcc
	s_cbranch_execz .LBB14_570
; %bb.564:                              ;   in Loop: Header=BB14_523 Depth=1
	s_mov_b64 s[14:15], exec
	v_mbcnt_lo_u32_b32 v4, s14, 0
	v_mbcnt_hi_u32_b32 v4, s15, v4
	v_cmp_eq_u32_e32 vcc, 0, v4
                                        ; implicit-def: $vgpr5
	s_and_saveexec_b64 s[12:13], vcc
	s_cbranch_execz .LBB14_566
; %bb.565:                              ;   in Loop: Header=BB14_523 Depth=1
	s_bcnt1_i32_b64 s14, s[14:15]
	v_mov_b32_e32 v5, s14
	global_atomic_add v5, v15, v5, s[22:23] offset:384 glc
.LBB14_566:                             ;   in Loop: Header=BB14_523 Depth=1
	s_or_b64 exec, exec, s[12:13]
	s_and_b64 vcc, exec, s[4:5]
	s_waitcnt vmcnt(0)
	v_readfirstlane_b32 s12, v5
	s_cbranch_vccnz .LBB14_568
; %bb.567:                              ;   in Loop: Header=BB14_523 Depth=1
	v_ashrrev_i32_e32 v29, 31, v28
	v_lshlrev_b64 v[34:35], 2, v[28:29]
	v_mov_b32_e32 v5, s65
	v_add_co_u32_e32 v34, vcc, s64, v34
	v_addc_co_u32_e32 v35, vcc, v5, v35, vcc
	global_load_dword v5, v[34:35], off
	s_branch .LBB14_569
.LBB14_568:                             ;   in Loop: Header=BB14_523 Depth=1
	v_add_u32_e32 v5, 2, v28
.LBB14_569:                             ;   in Loop: Header=BB14_523 Depth=1
	v_add_u32_e32 v34, s12, v4
	v_ashrrev_i32_e32 v35, 31, v34
	v_lshlrev_b64 v[34:35], 2, v[34:35]
	v_mov_b32_e32 v4, s37
	v_add_co_u32_e32 v34, vcc, s33, v34
	v_addc_co_u32_e32 v35, vcc, v4, v35, vcc
	s_waitcnt vmcnt(0)
	global_store_dword v[34:35], v5, off
.LBB14_570:                             ;   in Loop: Header=BB14_523 Depth=1
	;; [unrolled: 46-line block ×3, first 2 shown]
	s_or_b64 exec, exec, s[10:11]
	s_waitcnt vmcnt(1)
	v_cmp_gt_i32_e32 vcc, 0, v8
	v_cndmask_b32_e64 v5, v32, 0, vcc
	v_xor_b32_e32 v5, v5, v8
	v_add_u32_e32 v4, s26, v25
	v_and_b32_e32 v5, s17, v5
	v_lshl_add_u32 v4, v4, 2, s30
	v_cmp_le_u32_e32 vcc, v5, v13
	s_and_saveexec_b64 s[10:11], vcc
	s_cbranch_execz .LBB14_583
; %bb.578:                              ;   in Loop: Header=BB14_523 Depth=1
	s_mov_b64 s[14:15], exec
	v_mbcnt_lo_u32_b32 v5, s14, 0
	v_mbcnt_hi_u32_b32 v6, s15, v5
	v_cmp_eq_u32_e32 vcc, 0, v6
                                        ; implicit-def: $vgpr5
	s_and_saveexec_b64 s[12:13], vcc
	s_cbranch_execz .LBB14_580
; %bb.579:                              ;   in Loop: Header=BB14_523 Depth=1
	s_bcnt1_i32_b64 s14, s[14:15]
	v_mov_b32_e32 v5, s14
	global_atomic_add v5, v15, v5, s[22:23] offset:384 glc
.LBB14_580:                             ;   in Loop: Header=BB14_523 Depth=1
	s_or_b64 exec, exec, s[12:13]
	s_waitcnt vmcnt(0)
	v_readfirstlane_b32 s12, v5
	s_and_b64 vcc, exec, s[4:5]
	v_mov_b32_e32 v5, v4
	s_cbranch_vccnz .LBB14_582
; %bb.581:                              ;   in Loop: Header=BB14_523 Depth=1
	v_ashrrev_i32_e32 v5, 31, v4
	v_lshlrev_b64 v[28:29], 2, v[4:5]
	v_mov_b32_e32 v5, s21
	v_add_co_u32_e32 v28, vcc, s20, v28
	v_addc_co_u32_e32 v29, vcc, v5, v29, vcc
	global_load_dword v5, v[28:29], off
.LBB14_582:                             ;   in Loop: Header=BB14_523 Depth=1
	v_add_u32_e32 v6, s12, v6
	v_ashrrev_i32_e32 v7, 31, v6
	v_lshlrev_b64 v[6:7], 2, v[6:7]
	v_mov_b32_e32 v8, s37
	v_add_co_u32_e32 v6, vcc, s33, v6
	v_addc_co_u32_e32 v7, vcc, v8, v7, vcc
	s_waitcnt vmcnt(0)
	global_store_dword v[6:7], v5, off
.LBB14_583:                             ;   in Loop: Header=BB14_523 Depth=1
	s_or_b64 exec, exec, s[10:11]
	v_cmp_gt_i32_e32 vcc, 0, v9
	v_cndmask_b32_e64 v5, v32, 0, vcc
	v_xor_b32_e32 v5, v5, v9
	v_and_b32_e32 v5, s17, v5
	v_cmp_le_u32_e32 vcc, v5, v13
	s_and_saveexec_b64 s[10:11], vcc
	s_cbranch_execz .LBB14_590
; %bb.584:                              ;   in Loop: Header=BB14_523 Depth=1
	s_mov_b64 s[14:15], exec
	v_mbcnt_lo_u32_b32 v5, s14, 0
	v_mbcnt_hi_u32_b32 v6, s15, v5
	v_cmp_eq_u32_e32 vcc, 0, v6
                                        ; implicit-def: $vgpr5
	s_and_saveexec_b64 s[12:13], vcc
	s_cbranch_execz .LBB14_586
; %bb.585:                              ;   in Loop: Header=BB14_523 Depth=1
	s_bcnt1_i32_b64 s14, s[14:15]
	v_mov_b32_e32 v5, s14
	global_atomic_add v5, v15, v5, s[22:23] offset:384 glc
.LBB14_586:                             ;   in Loop: Header=BB14_523 Depth=1
	s_or_b64 exec, exec, s[12:13]
	s_and_b64 vcc, exec, s[4:5]
	s_waitcnt vmcnt(0)
	v_readfirstlane_b32 s12, v5
	s_cbranch_vccnz .LBB14_588
; %bb.587:                              ;   in Loop: Header=BB14_523 Depth=1
	v_ashrrev_i32_e32 v5, 31, v4
	v_lshlrev_b64 v[8:9], 2, v[4:5]
	v_mov_b32_e32 v5, s31
	v_add_co_u32_e32 v8, vcc, s27, v8
	v_addc_co_u32_e32 v9, vcc, v5, v9, vcc
	global_load_dword v5, v[8:9], off
	s_branch .LBB14_589
.LBB14_588:                             ;   in Loop: Header=BB14_523 Depth=1
	v_add_u32_e32 v5, 1, v4
.LBB14_589:                             ;   in Loop: Header=BB14_523 Depth=1
	v_add_u32_e32 v6, s12, v6
	v_ashrrev_i32_e32 v7, 31, v6
	v_lshlrev_b64 v[6:7], 2, v[6:7]
	v_mov_b32_e32 v8, s37
	v_add_co_u32_e32 v6, vcc, s33, v6
	v_addc_co_u32_e32 v7, vcc, v8, v7, vcc
	s_waitcnt vmcnt(0)
	global_store_dword v[6:7], v5, off
.LBB14_590:                             ;   in Loop: Header=BB14_523 Depth=1
	s_or_b64 exec, exec, s[10:11]
	v_cmp_gt_i32_e32 vcc, 0, v10
	v_cndmask_b32_e64 v5, v32, 0, vcc
	v_xor_b32_e32 v5, v5, v10
	v_and_b32_e32 v5, s17, v5
	v_cmp_le_u32_e32 vcc, v5, v13
	s_and_saveexec_b64 s[10:11], vcc
	s_cbranch_execz .LBB14_597
; %bb.591:                              ;   in Loop: Header=BB14_523 Depth=1
	s_mov_b64 s[14:15], exec
	v_mbcnt_lo_u32_b32 v5, s14, 0
	v_mbcnt_hi_u32_b32 v6, s15, v5
	v_cmp_eq_u32_e32 vcc, 0, v6
                                        ; implicit-def: $vgpr5
	s_and_saveexec_b64 s[12:13], vcc
	s_cbranch_execz .LBB14_593
; %bb.592:                              ;   in Loop: Header=BB14_523 Depth=1
	s_bcnt1_i32_b64 s14, s[14:15]
	v_mov_b32_e32 v5, s14
	global_atomic_add v5, v15, v5, s[22:23] offset:384 glc
.LBB14_593:                             ;   in Loop: Header=BB14_523 Depth=1
	s_or_b64 exec, exec, s[12:13]
	s_and_b64 vcc, exec, s[4:5]
	s_waitcnt vmcnt(0)
	v_readfirstlane_b32 s12, v5
	s_cbranch_vccnz .LBB14_595
; %bb.594:                              ;   in Loop: Header=BB14_523 Depth=1
	v_ashrrev_i32_e32 v5, 31, v4
	v_lshlrev_b64 v[8:9], 2, v[4:5]
	v_mov_b32_e32 v5, s65
	v_add_co_u32_e32 v8, vcc, s64, v8
	v_addc_co_u32_e32 v9, vcc, v5, v9, vcc
	global_load_dword v5, v[8:9], off
	s_branch .LBB14_596
.LBB14_595:                             ;   in Loop: Header=BB14_523 Depth=1
	v_add_u32_e32 v5, 2, v4
.LBB14_596:                             ;   in Loop: Header=BB14_523 Depth=1
	v_add_u32_e32 v6, s12, v6
	v_ashrrev_i32_e32 v7, 31, v6
	v_lshlrev_b64 v[6:7], 2, v[6:7]
	v_mov_b32_e32 v8, s37
	v_add_co_u32_e32 v6, vcc, s33, v6
	v_addc_co_u32_e32 v7, vcc, v8, v7, vcc
	s_waitcnt vmcnt(0)
	global_store_dword v[6:7], v5, off
.LBB14_597:                             ;   in Loop: Header=BB14_523 Depth=1
	;; [unrolled: 46-line block ×3, first 2 shown]
	s_or_b64 exec, exec, s[10:11]
	s_waitcnt vmcnt(0)
	v_cmp_gt_i32_e32 vcc, 0, v0
	v_cndmask_b32_e64 v5, v32, 0, vcc
	v_xor_b32_e32 v0, v5, v0
	v_and_b32_e32 v0, s17, v0
	v_lshl_add_u32 v4, v26, 2, s30
	v_cmp_le_u32_e32 vcc, v0, v13
	s_and_saveexec_b64 s[10:11], vcc
	s_cbranch_execz .LBB14_610
; %bb.605:                              ;   in Loop: Header=BB14_523 Depth=1
	s_mov_b64 s[14:15], exec
	v_mbcnt_lo_u32_b32 v0, s14, 0
	v_mbcnt_hi_u32_b32 v0, s15, v0
	v_cmp_eq_u32_e32 vcc, 0, v0
                                        ; implicit-def: $vgpr5
	s_and_saveexec_b64 s[12:13], vcc
	s_cbranch_execz .LBB14_607
; %bb.606:                              ;   in Loop: Header=BB14_523 Depth=1
	s_bcnt1_i32_b64 s14, s[14:15]
	v_mov_b32_e32 v5, s14
	global_atomic_add v5, v15, v5, s[22:23] offset:384 glc
.LBB14_607:                             ;   in Loop: Header=BB14_523 Depth=1
	s_or_b64 exec, exec, s[12:13]
	s_waitcnt vmcnt(0)
	v_readfirstlane_b32 s12, v5
	s_and_b64 vcc, exec, s[4:5]
	v_mov_b32_e32 v5, v4
	s_cbranch_vccnz .LBB14_609
; %bb.608:                              ;   in Loop: Header=BB14_523 Depth=1
	v_ashrrev_i32_e32 v5, 31, v4
	v_lshlrev_b64 v[6:7], 2, v[4:5]
	v_mov_b32_e32 v5, s21
	v_add_co_u32_e32 v6, vcc, s20, v6
	v_addc_co_u32_e32 v7, vcc, v5, v7, vcc
	global_load_dword v5, v[6:7], off
.LBB14_609:                             ;   in Loop: Header=BB14_523 Depth=1
	v_add_u32_e32 v6, s12, v0
	v_ashrrev_i32_e32 v7, 31, v6
	v_lshlrev_b64 v[6:7], 2, v[6:7]
	v_mov_b32_e32 v0, s37
	v_add_co_u32_e32 v6, vcc, s33, v6
	v_addc_co_u32_e32 v7, vcc, v0, v7, vcc
	s_waitcnt vmcnt(0)
	global_store_dword v[6:7], v5, off
.LBB14_610:                             ;   in Loop: Header=BB14_523 Depth=1
	s_or_b64 exec, exec, s[10:11]
	v_cmp_gt_i32_e32 vcc, 0, v1
	v_cndmask_b32_e64 v0, v32, 0, vcc
	v_xor_b32_e32 v0, v0, v1
	v_and_b32_e32 v0, s17, v0
	v_cmp_le_u32_e32 vcc, v0, v13
	s_and_saveexec_b64 s[10:11], vcc
	s_cbranch_execz .LBB14_617
; %bb.611:                              ;   in Loop: Header=BB14_523 Depth=1
	s_mov_b64 s[14:15], exec
	v_mbcnt_lo_u32_b32 v0, s14, 0
	v_mbcnt_hi_u32_b32 v0, s15, v0
	v_cmp_eq_u32_e32 vcc, 0, v0
                                        ; implicit-def: $vgpr1
	s_and_saveexec_b64 s[12:13], vcc
	s_cbranch_execz .LBB14_613
; %bb.612:                              ;   in Loop: Header=BB14_523 Depth=1
	s_bcnt1_i32_b64 s14, s[14:15]
	v_mov_b32_e32 v1, s14
	global_atomic_add v1, v15, v1, s[22:23] offset:384 glc
.LBB14_613:                             ;   in Loop: Header=BB14_523 Depth=1
	s_or_b64 exec, exec, s[12:13]
	s_and_b64 vcc, exec, s[4:5]
	s_waitcnt vmcnt(0)
	v_readfirstlane_b32 s12, v1
	s_cbranch_vccnz .LBB14_615
; %bb.614:                              ;   in Loop: Header=BB14_523 Depth=1
	v_ashrrev_i32_e32 v5, 31, v4
	v_lshlrev_b64 v[6:7], 2, v[4:5]
	v_mov_b32_e32 v1, s31
	v_add_co_u32_e32 v6, vcc, s27, v6
	v_addc_co_u32_e32 v7, vcc, v1, v7, vcc
	global_load_dword v1, v[6:7], off
	s_branch .LBB14_616
.LBB14_615:                             ;   in Loop: Header=BB14_523 Depth=1
	v_add_u32_e32 v1, 1, v4
.LBB14_616:                             ;   in Loop: Header=BB14_523 Depth=1
	v_add_u32_e32 v6, s12, v0
	v_ashrrev_i32_e32 v7, 31, v6
	v_lshlrev_b64 v[6:7], 2, v[6:7]
	v_mov_b32_e32 v0, s37
	v_add_co_u32_e32 v6, vcc, s33, v6
	v_addc_co_u32_e32 v7, vcc, v0, v7, vcc
	s_waitcnt vmcnt(0)
	global_store_dword v[6:7], v1, off
.LBB14_617:                             ;   in Loop: Header=BB14_523 Depth=1
	s_or_b64 exec, exec, s[10:11]
	v_cmp_gt_i32_e32 vcc, 0, v2
	v_cndmask_b32_e64 v0, v32, 0, vcc
	v_xor_b32_e32 v0, v0, v2
	v_and_b32_e32 v0, s17, v0
	v_cmp_le_u32_e32 vcc, v0, v13
	s_and_saveexec_b64 s[10:11], vcc
	s_cbranch_execz .LBB14_624
; %bb.618:                              ;   in Loop: Header=BB14_523 Depth=1
	s_mov_b64 s[14:15], exec
	v_mbcnt_lo_u32_b32 v0, s14, 0
	v_mbcnt_hi_u32_b32 v0, s15, v0
	v_cmp_eq_u32_e32 vcc, 0, v0
                                        ; implicit-def: $vgpr1
	s_and_saveexec_b64 s[12:13], vcc
	s_cbranch_execz .LBB14_620
; %bb.619:                              ;   in Loop: Header=BB14_523 Depth=1
	s_bcnt1_i32_b64 s14, s[14:15]
	v_mov_b32_e32 v1, s14
	global_atomic_add v1, v15, v1, s[22:23] offset:384 glc
.LBB14_620:                             ;   in Loop: Header=BB14_523 Depth=1
	s_or_b64 exec, exec, s[12:13]
	s_and_b64 vcc, exec, s[4:5]
	s_waitcnt vmcnt(0)
	v_readfirstlane_b32 s12, v1
	s_cbranch_vccnz .LBB14_622
; %bb.621:                              ;   in Loop: Header=BB14_523 Depth=1
	v_ashrrev_i32_e32 v5, 31, v4
	v_lshlrev_b64 v[6:7], 2, v[4:5]
	v_mov_b32_e32 v1, s65
	v_add_co_u32_e32 v6, vcc, s64, v6
	v_addc_co_u32_e32 v7, vcc, v1, v7, vcc
	global_load_dword v1, v[6:7], off
	s_branch .LBB14_623
.LBB14_622:                             ;   in Loop: Header=BB14_523 Depth=1
	v_add_u32_e32 v1, 2, v4
.LBB14_623:                             ;   in Loop: Header=BB14_523 Depth=1
	v_add_u32_e32 v6, s12, v0
	v_ashrrev_i32_e32 v7, 31, v6
	v_lshlrev_b64 v[6:7], 2, v[6:7]
	v_mov_b32_e32 v0, s37
	v_add_co_u32_e32 v6, vcc, s33, v6
	v_addc_co_u32_e32 v7, vcc, v0, v7, vcc
	s_waitcnt vmcnt(0)
	global_store_dword v[6:7], v1, off
.LBB14_624:                             ;   in Loop: Header=BB14_523 Depth=1
	s_or_b64 exec, exec, s[10:11]
	v_cmp_gt_i32_e32 vcc, 0, v3
	v_cndmask_b32_e64 v0, v32, 0, vcc
	v_xor_b32_e32 v0, v0, v3
	v_and_b32_e32 v0, s17, v0
	v_cmp_le_u32_e32 vcc, v0, v13
	s_and_saveexec_b64 s[10:11], vcc
	s_cbranch_execz .LBB14_522
; %bb.625:                              ;   in Loop: Header=BB14_523 Depth=1
	s_mov_b64 s[14:15], exec
	v_mbcnt_lo_u32_b32 v0, s14, 0
	v_mbcnt_hi_u32_b32 v0, s15, v0
	v_cmp_eq_u32_e32 vcc, 0, v0
                                        ; implicit-def: $vgpr1
	s_and_saveexec_b64 s[12:13], vcc
	s_cbranch_execz .LBB14_627
; %bb.626:                              ;   in Loop: Header=BB14_523 Depth=1
	s_bcnt1_i32_b64 s14, s[14:15]
	v_mov_b32_e32 v1, s14
	global_atomic_add v1, v15, v1, s[22:23] offset:384 glc
.LBB14_627:                             ;   in Loop: Header=BB14_523 Depth=1
	s_or_b64 exec, exec, s[12:13]
	s_and_b64 vcc, exec, s[4:5]
	s_waitcnt vmcnt(0)
	v_readfirstlane_b32 s12, v1
	s_cbranch_vccz .LBB14_520
; %bb.628:                              ;   in Loop: Header=BB14_523 Depth=1
	v_add_u32_e32 v1, 3, v4
	s_branch .LBB14_521
.LBB14_629:
                                        ; implicit-def: $sgpr0_sgpr1
	s_branch .LBB14_2
.LBB14_630:
	s_or_b64 exec, exec, s[8:9]
	v_mov_b32_e32 v4, v24
.LBB14_631:
	s_or_b64 exec, exec, s[6:7]
	v_cmp_gt_i32_e32 vcc, s28, v4
	s_and_saveexec_b64 s[6:7], vcc
	s_cbranch_execz .LBB14_661
; %bb.632:
	v_cndmask_b32_e64 v0, 0, 1, s[24:25]
	s_lshl_b32 s17, -1, s16
	s_waitcnt vmcnt(0)
	v_lshl_add_u32 v6, v4, 2, s30
	s_mov_b64 s[8:9], 0
	v_mov_b32_e32 v8, s68
	v_bfrev_b32_e32 v9, -2
	v_mov_b32_e32 v10, 0
	v_cmp_ne_u32_e64 s[4:5], 1, v0
	s_branch .LBB14_636
.LBB14_633:                             ;   in Loop: Header=BB14_636 Depth=1
	v_ashrrev_i32_e32 v7, 31, v6
	v_lshlrev_b64 v[2:3], 2, v[6:7]
	v_mov_b32_e32 v1, s67
	v_add_co_u32_e32 v2, vcc, s66, v2
	v_addc_co_u32_e32 v3, vcc, v1, v3, vcc
	global_load_dword v1, v[2:3], off
.LBB14_634:                             ;   in Loop: Header=BB14_636 Depth=1
	v_add_u32_e32 v2, s12, v0
	v_ashrrev_i32_e32 v3, 31, v2
	v_lshlrev_b64 v[2:3], 2, v[2:3]
	v_mov_b32_e32 v0, s37
	v_add_co_u32_e32 v2, vcc, s33, v2
	v_addc_co_u32_e32 v3, vcc, v0, v3, vcc
	s_waitcnt vmcnt(0)
	global_store_dword v[2:3], v1, off
.LBB14_635:                             ;   in Loop: Header=BB14_636 Depth=1
	s_or_b64 exec, exec, s[10:11]
	v_add_u32_e32 v4, s26, v4
	v_cmp_le_i32_e32 vcc, s28, v4
	s_or_b64 s[8:9], vcc, s[8:9]
	v_add_u32_e32 v6, s63, v6
	s_andn2_b64 exec, exec, s[8:9]
	s_cbranch_execz .LBB14_661
.LBB14_636:                             ; =>This Inner Loop Header: Depth=1
	v_ashrrev_i32_e32 v5, 31, v4
	v_lshlrev_b64 v[0:1], 4, v[4:5]
	v_add_co_u32_e32 v0, vcc, s62, v0
	v_addc_co_u32_e32 v1, vcc, v8, v1, vcc
	global_load_dwordx4 v[0:3], v[0:1], off
	s_waitcnt vmcnt(0)
	v_cmp_gt_i32_e32 vcc, 0, v0
	v_cndmask_b32_e64 v5, v9, 0, vcc
	v_xor_b32_e32 v0, v5, v0
	v_and_b32_e32 v0, s17, v0
	s_waitcnt lgkmcnt(0)
	v_cmp_le_u32_e32 vcc, v0, v13
	s_and_saveexec_b64 s[10:11], vcc
	s_cbranch_execz .LBB14_642
; %bb.637:                              ;   in Loop: Header=BB14_636 Depth=1
	s_mov_b64 s[14:15], exec
	v_mbcnt_lo_u32_b32 v0, s14, 0
	v_mbcnt_hi_u32_b32 v0, s15, v0
	v_cmp_eq_u32_e32 vcc, 0, v0
                                        ; implicit-def: $vgpr5
	s_and_saveexec_b64 s[12:13], vcc
	s_cbranch_execz .LBB14_639
; %bb.638:                              ;   in Loop: Header=BB14_636 Depth=1
	s_bcnt1_i32_b64 s14, s[14:15]
	v_mov_b32_e32 v5, s14
	global_atomic_add v5, v10, v5, s[22:23] offset:384 glc
.LBB14_639:                             ;   in Loop: Header=BB14_636 Depth=1
	s_or_b64 exec, exec, s[12:13]
	s_waitcnt vmcnt(0)
	v_readfirstlane_b32 s12, v5
	s_and_b64 vcc, exec, s[4:5]
	v_mov_b32_e32 v5, v6
	s_cbranch_vccnz .LBB14_641
; %bb.640:                              ;   in Loop: Header=BB14_636 Depth=1
	v_ashrrev_i32_e32 v7, 31, v6
	v_lshlrev_b64 v[24:25], 2, v[6:7]
	v_mov_b32_e32 v5, s21
	v_add_co_u32_e32 v24, vcc, s20, v24
	v_addc_co_u32_e32 v25, vcc, v5, v25, vcc
	global_load_dword v5, v[24:25], off
.LBB14_641:                             ;   in Loop: Header=BB14_636 Depth=1
	v_add_u32_e32 v24, s12, v0
	v_ashrrev_i32_e32 v25, 31, v24
	v_lshlrev_b64 v[24:25], 2, v[24:25]
	v_mov_b32_e32 v0, s37
	v_add_co_u32_e32 v24, vcc, s33, v24
	v_addc_co_u32_e32 v25, vcc, v0, v25, vcc
	s_waitcnt vmcnt(0)
	global_store_dword v[24:25], v5, off
.LBB14_642:                             ;   in Loop: Header=BB14_636 Depth=1
	s_or_b64 exec, exec, s[10:11]
	v_cmp_gt_i32_e32 vcc, 0, v1
	v_cndmask_b32_e64 v0, v9, 0, vcc
	v_xor_b32_e32 v0, v0, v1
	v_and_b32_e32 v0, s17, v0
	v_cmp_le_u32_e32 vcc, v0, v13
	s_and_saveexec_b64 s[10:11], vcc
	s_cbranch_execz .LBB14_649
; %bb.643:                              ;   in Loop: Header=BB14_636 Depth=1
	s_mov_b64 s[14:15], exec
	v_mbcnt_lo_u32_b32 v0, s14, 0
	v_mbcnt_hi_u32_b32 v0, s15, v0
	v_cmp_eq_u32_e32 vcc, 0, v0
                                        ; implicit-def: $vgpr1
	s_and_saveexec_b64 s[12:13], vcc
	s_cbranch_execz .LBB14_645
; %bb.644:                              ;   in Loop: Header=BB14_636 Depth=1
	s_bcnt1_i32_b64 s14, s[14:15]
	v_mov_b32_e32 v1, s14
	global_atomic_add v1, v10, v1, s[22:23] offset:384 glc
.LBB14_645:                             ;   in Loop: Header=BB14_636 Depth=1
	s_or_b64 exec, exec, s[12:13]
	s_and_b64 vcc, exec, s[4:5]
	s_waitcnt vmcnt(0)
	v_readfirstlane_b32 s12, v1
	s_cbranch_vccnz .LBB14_647
; %bb.646:                              ;   in Loop: Header=BB14_636 Depth=1
	v_ashrrev_i32_e32 v7, 31, v6
	v_lshlrev_b64 v[24:25], 2, v[6:7]
	v_mov_b32_e32 v1, s31
	v_add_co_u32_e32 v24, vcc, s27, v24
	v_addc_co_u32_e32 v25, vcc, v1, v25, vcc
	global_load_dword v1, v[24:25], off
	s_branch .LBB14_648
.LBB14_647:                             ;   in Loop: Header=BB14_636 Depth=1
	v_add_u32_e32 v1, 1, v6
.LBB14_648:                             ;   in Loop: Header=BB14_636 Depth=1
	v_add_u32_e32 v24, s12, v0
	v_ashrrev_i32_e32 v25, 31, v24
	v_lshlrev_b64 v[24:25], 2, v[24:25]
	v_mov_b32_e32 v0, s37
	v_add_co_u32_e32 v24, vcc, s33, v24
	v_addc_co_u32_e32 v25, vcc, v0, v25, vcc
	s_waitcnt vmcnt(0)
	global_store_dword v[24:25], v1, off
.LBB14_649:                             ;   in Loop: Header=BB14_636 Depth=1
	s_or_b64 exec, exec, s[10:11]
	v_cmp_gt_i32_e32 vcc, 0, v2
	v_cndmask_b32_e64 v0, v9, 0, vcc
	v_xor_b32_e32 v0, v0, v2
	v_and_b32_e32 v0, s17, v0
	v_cmp_le_u32_e32 vcc, v0, v13
	s_and_saveexec_b64 s[10:11], vcc
	s_cbranch_execz .LBB14_656
; %bb.650:                              ;   in Loop: Header=BB14_636 Depth=1
	s_mov_b64 s[14:15], exec
	v_mbcnt_lo_u32_b32 v0, s14, 0
	v_mbcnt_hi_u32_b32 v0, s15, v0
	v_cmp_eq_u32_e32 vcc, 0, v0
                                        ; implicit-def: $vgpr1
	s_and_saveexec_b64 s[12:13], vcc
	s_cbranch_execz .LBB14_652
; %bb.651:                              ;   in Loop: Header=BB14_636 Depth=1
	s_bcnt1_i32_b64 s14, s[14:15]
	v_mov_b32_e32 v1, s14
	global_atomic_add v1, v10, v1, s[22:23] offset:384 glc
.LBB14_652:                             ;   in Loop: Header=BB14_636 Depth=1
	s_or_b64 exec, exec, s[12:13]
	s_and_b64 vcc, exec, s[4:5]
	s_waitcnt vmcnt(0)
	v_readfirstlane_b32 s12, v1
	s_cbranch_vccnz .LBB14_654
; %bb.653:                              ;   in Loop: Header=BB14_636 Depth=1
	v_ashrrev_i32_e32 v7, 31, v6
	v_lshlrev_b64 v[24:25], 2, v[6:7]
	v_mov_b32_e32 v1, s65
	v_add_co_u32_e32 v24, vcc, s64, v24
	v_addc_co_u32_e32 v25, vcc, v1, v25, vcc
	global_load_dword v1, v[24:25], off
	s_branch .LBB14_655
.LBB14_654:                             ;   in Loop: Header=BB14_636 Depth=1
	v_add_u32_e32 v1, 2, v6
.LBB14_655:                             ;   in Loop: Header=BB14_636 Depth=1
	v_add_u32_e32 v24, s12, v0
	v_ashrrev_i32_e32 v25, 31, v24
	v_lshlrev_b64 v[24:25], 2, v[24:25]
	v_mov_b32_e32 v0, s37
	v_add_co_u32_e32 v24, vcc, s33, v24
	v_addc_co_u32_e32 v25, vcc, v0, v25, vcc
	s_waitcnt vmcnt(0)
	global_store_dword v[24:25], v1, off
.LBB14_656:                             ;   in Loop: Header=BB14_636 Depth=1
	s_or_b64 exec, exec, s[10:11]
	v_cmp_gt_i32_e32 vcc, 0, v3
	v_cndmask_b32_e64 v0, v9, 0, vcc
	v_xor_b32_e32 v0, v0, v3
	v_and_b32_e32 v0, s17, v0
	v_cmp_le_u32_e32 vcc, v0, v13
	s_and_saveexec_b64 s[10:11], vcc
	s_cbranch_execz .LBB14_635
; %bb.657:                              ;   in Loop: Header=BB14_636 Depth=1
	s_mov_b64 s[14:15], exec
	v_mbcnt_lo_u32_b32 v0, s14, 0
	v_mbcnt_hi_u32_b32 v0, s15, v0
	v_cmp_eq_u32_e32 vcc, 0, v0
                                        ; implicit-def: $vgpr1
	s_and_saveexec_b64 s[12:13], vcc
	s_cbranch_execz .LBB14_659
; %bb.658:                              ;   in Loop: Header=BB14_636 Depth=1
	s_bcnt1_i32_b64 s14, s[14:15]
	v_mov_b32_e32 v1, s14
	global_atomic_add v1, v10, v1, s[22:23] offset:384 glc
.LBB14_659:                             ;   in Loop: Header=BB14_636 Depth=1
	s_or_b64 exec, exec, s[12:13]
	s_and_b64 vcc, exec, s[4:5]
	s_waitcnt vmcnt(0)
	v_readfirstlane_b32 s12, v1
	s_cbranch_vccz .LBB14_633
; %bb.660:                              ;   in Loop: Header=BB14_636 Depth=1
	v_add_u32_e32 v1, 3, v6
	s_branch .LBB14_634
.LBB14_661:
	s_or_b64 exec, exec, s[6:7]
	s_and_saveexec_b64 s[4:5], s[2:3]
	s_cbranch_execz .LBB14_668
; %bb.662:
	global_load_dword v0, v[20:21], off
	v_bfrev_b32_e32 v1, -2
	s_lshl_b32 s2, -1, s16
	s_waitcnt vmcnt(0)
	v_cmp_gt_i32_e32 vcc, 0, v0
	v_cndmask_b32_e64 v1, v1, 0, vcc
	v_xor_b32_e32 v0, v1, v0
	v_and_b32_e32 v0, s2, v0
	s_waitcnt lgkmcnt(0)
	v_cmp_le_u32_e32 vcc, v0, v13
	s_and_b64 exec, exec, vcc
	s_cbranch_execz .LBB14_668
; %bb.663:
	s_mov_b64 s[6:7], exec
	v_mbcnt_lo_u32_b32 v0, s6, 0
	v_mbcnt_hi_u32_b32 v0, s7, v0
	v_cmp_eq_u32_e32 vcc, 0, v0
                                        ; implicit-def: $vgpr1
	s_and_saveexec_b64 s[2:3], vcc
	s_cbranch_execz .LBB14_665
; %bb.664:
	s_bcnt1_i32_b64 s6, s[6:7]
	v_mov_b32_e32 v1, 0
	v_mov_b32_e32 v2, s6
	global_atomic_add v1, v1, v2, s[22:23] offset:384 glc
.LBB14_665:
	s_or_b64 exec, exec, s[2:3]
	s_andn2_b64 vcc, exec, s[24:25]
	s_waitcnt vmcnt(0)
	v_readfirstlane_b32 s2, v1
	s_cbranch_vccnz .LBB14_667
; %bb.666:
	global_load_dword v14, v[22:23], off
.LBB14_667:
	v_add_u32_e32 v0, s2, v0
	v_ashrrev_i32_e32 v1, 31, v0
	v_lshlrev_b64 v[0:1], 2, v[0:1]
	v_mov_b32_e32 v2, s37
	v_add_co_u32_e32 v0, vcc, s33, v0
	v_addc_co_u32_e32 v1, vcc, v2, v1, vcc
	s_waitcnt vmcnt(0)
	global_store_dword v[0:1], v14, off
.LBB14_668:
	s_or_b64 exec, exec, s[4:5]
	s_and_saveexec_b64 s[2:3], s[0:1]
	s_cbranch_execz .LBB14_675
; %bb.669:
	global_load_dword v0, v[18:19], off
	v_bfrev_b32_e32 v1, -2
	s_lshl_b32 s0, -1, s16
	s_waitcnt vmcnt(0)
	v_cmp_gt_i32_e32 vcc, 0, v0
	v_cndmask_b32_e64 v1, v1, 0, vcc
	v_xor_b32_e32 v0, v1, v0
	v_and_b32_e32 v0, s0, v0
	s_waitcnt lgkmcnt(0)
	v_cmp_le_u32_e32 vcc, v0, v13
	s_and_b64 exec, exec, vcc
	s_cbranch_execz .LBB14_675
; %bb.670:
	s_mov_b64 s[2:3], exec
	v_mbcnt_lo_u32_b32 v0, s2, 0
	v_mbcnt_hi_u32_b32 v0, s3, v0
	v_cmp_eq_u32_e32 vcc, 0, v0
                                        ; implicit-def: $vgpr1
	s_and_saveexec_b64 s[0:1], vcc
	s_cbranch_execz .LBB14_672
; %bb.671:
	s_bcnt1_i32_b64 s2, s[2:3]
	v_mov_b32_e32 v1, 0
	v_mov_b32_e32 v2, s2
	global_atomic_add v1, v1, v2, s[22:23] offset:384 glc
.LBB14_672:
	s_or_b64 exec, exec, s[0:1]
	s_andn2_b64 vcc, exec, s[24:25]
	s_waitcnt vmcnt(0)
	v_readfirstlane_b32 s0, v1
	s_cbranch_vccnz .LBB14_674
; %bb.673:
	global_load_dword v12, v[16:17], off
.LBB14_674:
	v_add_u32_e32 v0, s0, v0
	v_ashrrev_i32_e32 v1, 31, v0
	v_lshlrev_b64 v[0:1], 2, v[0:1]
	v_mov_b32_e32 v2, s37
	v_add_co_u32_e32 v0, vcc, s33, v0
	v_addc_co_u32_e32 v1, vcc, v2, v1, vcc
	s_waitcnt vmcnt(0)
	global_store_dword v[0:1], v12, off
.LBB14_675:
	s_endpgm
	.section	.rodata,"a",@progbits
	.p2align	6, 0x0
	.amdhsa_kernel _ZN5aiter2mb23radix_kernel_persistentIfiLi10ELi1024ELb0ELb0ELNS0_5PhaseE1EEEvPKT_PKT0_PS3_PS6_PNS0_7CounterIS3_S6_EESA_S6_S8_S8_S6_S6_b
		.amdhsa_group_segment_fixed_size 8592
		.amdhsa_private_segment_fixed_size 0
		.amdhsa_kernarg_size 344
		.amdhsa_user_sgpr_count 6
		.amdhsa_user_sgpr_private_segment_buffer 1
		.amdhsa_user_sgpr_dispatch_ptr 0
		.amdhsa_user_sgpr_queue_ptr 0
		.amdhsa_user_sgpr_kernarg_segment_ptr 1
		.amdhsa_user_sgpr_dispatch_id 0
		.amdhsa_user_sgpr_flat_scratch_init 0
		.amdhsa_user_sgpr_kernarg_preload_length 0
		.amdhsa_user_sgpr_kernarg_preload_offset 0
		.amdhsa_user_sgpr_private_segment_size 0
		.amdhsa_uses_dynamic_stack 0
		.amdhsa_system_sgpr_private_segment_wavefront_offset 0
		.amdhsa_system_sgpr_workgroup_id_x 1
		.amdhsa_system_sgpr_workgroup_id_y 1
		.amdhsa_system_sgpr_workgroup_id_z 0
		.amdhsa_system_sgpr_workgroup_info 0
		.amdhsa_system_vgpr_workitem_id 2
		.amdhsa_next_free_vgpr 63
		.amdhsa_next_free_sgpr 91
		.amdhsa_accum_offset 64
		.amdhsa_reserve_vcc 1
		.amdhsa_reserve_flat_scratch 0
		.amdhsa_float_round_mode_32 0
		.amdhsa_float_round_mode_16_64 0
		.amdhsa_float_denorm_mode_32 3
		.amdhsa_float_denorm_mode_16_64 3
		.amdhsa_dx10_clamp 1
		.amdhsa_ieee_mode 1
		.amdhsa_fp16_overflow 0
		.amdhsa_tg_split 0
		.amdhsa_exception_fp_ieee_invalid_op 0
		.amdhsa_exception_fp_denorm_src 0
		.amdhsa_exception_fp_ieee_div_zero 0
		.amdhsa_exception_fp_ieee_overflow 0
		.amdhsa_exception_fp_ieee_underflow 0
		.amdhsa_exception_fp_ieee_inexact 0
		.amdhsa_exception_int_div_zero 0
	.end_amdhsa_kernel
	.section	.text._ZN5aiter2mb23radix_kernel_persistentIfiLi10ELi1024ELb0ELb0ELNS0_5PhaseE1EEEvPKT_PKT0_PS3_PS6_PNS0_7CounterIS3_S6_EESA_S6_S8_S8_S6_S6_b,"axG",@progbits,_ZN5aiter2mb23radix_kernel_persistentIfiLi10ELi1024ELb0ELb0ELNS0_5PhaseE1EEEvPKT_PKT0_PS3_PS6_PNS0_7CounterIS3_S6_EESA_S6_S8_S8_S6_S6_b,comdat
.Lfunc_end14:
	.size	_ZN5aiter2mb23radix_kernel_persistentIfiLi10ELi1024ELb0ELb0ELNS0_5PhaseE1EEEvPKT_PKT0_PS3_PS6_PNS0_7CounterIS3_S6_EESA_S6_S8_S8_S6_S6_b, .Lfunc_end14-_ZN5aiter2mb23radix_kernel_persistentIfiLi10ELi1024ELb0ELb0ELNS0_5PhaseE1EEEvPKT_PKT0_PS3_PS6_PNS0_7CounterIS3_S6_EESA_S6_S8_S8_S6_S6_b
                                        ; -- End function
	.section	.AMDGPU.csdata,"",@progbits
; Kernel info:
; codeLenInByte = 21364
; NumSgprs: 95
; NumVgprs: 63
; NumAgprs: 0
; TotalNumVgprs: 63
; ScratchSize: 0
; MemoryBound: 0
; FloatMode: 240
; IeeeMode: 1
; LDSByteSize: 8592 bytes/workgroup (compile time only)
; SGPRBlocks: 11
; VGPRBlocks: 7
; NumSGPRsForWavesPerEU: 95
; NumVGPRsForWavesPerEU: 63
; AccumOffset: 64
; Occupancy: 8
; WaveLimiterHint : 1
; COMPUTE_PGM_RSRC2:SCRATCH_EN: 0
; COMPUTE_PGM_RSRC2:USER_SGPR: 6
; COMPUTE_PGM_RSRC2:TRAP_HANDLER: 0
; COMPUTE_PGM_RSRC2:TGID_X_EN: 1
; COMPUTE_PGM_RSRC2:TGID_Y_EN: 1
; COMPUTE_PGM_RSRC2:TGID_Z_EN: 0
; COMPUTE_PGM_RSRC2:TIDIG_COMP_CNT: 2
; COMPUTE_PGM_RSRC3_GFX90A:ACCUM_OFFSET: 15
; COMPUTE_PGM_RSRC3_GFX90A:TG_SPLIT: 0
	.section	.text._ZN5aiter2ob27radix_topk_one_block_kernelIfiLi12ELi1024ELb0ELb0ELNS0_5PhaseE1EEEvPKT_PKT0_lS8_S8_S6_PS3_PS6_bPci,"axG",@progbits,_ZN5aiter2ob27radix_topk_one_block_kernelIfiLi12ELi1024ELb0ELb0ELNS0_5PhaseE1EEEvPKT_PKT0_lS8_S8_S6_PS3_PS6_bPci,comdat
	.protected	_ZN5aiter2ob27radix_topk_one_block_kernelIfiLi12ELi1024ELb0ELb0ELNS0_5PhaseE1EEEvPKT_PKT0_lS8_S8_S6_PS3_PS6_bPci ; -- Begin function _ZN5aiter2ob27radix_topk_one_block_kernelIfiLi12ELi1024ELb0ELb0ELNS0_5PhaseE1EEEvPKT_PKT0_lS8_S8_S6_PS3_PS6_bPci
	.globl	_ZN5aiter2ob27radix_topk_one_block_kernelIfiLi12ELi1024ELb0ELb0ELNS0_5PhaseE1EEEvPKT_PKT0_lS8_S8_S6_PS3_PS6_bPci
	.p2align	8
	.type	_ZN5aiter2ob27radix_topk_one_block_kernelIfiLi12ELi1024ELb0ELb0ELNS0_5PhaseE1EEEvPKT_PKT0_lS8_S8_S6_PS3_PS6_bPci,@function
_ZN5aiter2ob27radix_topk_one_block_kernelIfiLi12ELi1024ELb0ELb0ELNS0_5PhaseE1EEEvPKT_PKT0_lS8_S8_S6_PS3_PS6_bPci: ; @_ZN5aiter2ob27radix_topk_one_block_kernelIfiLi12ELi1024ELb0ELb0ELNS0_5PhaseE1EEEvPKT_PKT0_lS8_S8_S6_PS3_PS6_bPci
; %bb.0:
	s_load_dword s14, s[4:5], 0x50
	s_add_u32 flat_scratch_lo, s6, s9
	s_addc_u32 flat_scratch_hi, s7, 0
	s_add_u32 s0, s0, s9
	s_addc_u32 s1, s1, 0
	s_waitcnt lgkmcnt(0)
	s_ashr_i32 s6, s14, 31
	s_mov_b32 s18, s8
	s_mov_b32 s8, 0
	;; [unrolled: 1-line block ×3, first 2 shown]
	s_cmp_lg_u64 s[8:9], 0
	s_mov_b32 s32, 0
	s_cbranch_scc0 .LBB15_108
; %bb.1:
	s_add_u32 s10, s14, s6
	s_mov_b32 s8, s6
	s_mov_b32 s9, s6
	s_addc_u32 s11, s6, s6
	s_xor_b64 s[12:13], s[10:11], s[8:9]
	v_cvt_f32_u32_e32 v1, s12
	v_cvt_f32_u32_e32 v2, s13
	s_sub_u32 s6, 0, s12
	s_subb_u32 s7, 0, s13
	v_madmk_f32 v1, v2, 0x4f800000, v1
	v_rcp_f32_e32 v1, v1
	v_mul_f32_e32 v1, 0x5f7ffffc, v1
	v_mul_f32_e32 v2, 0x2f800000, v1
	v_trunc_f32_e32 v2, v2
	v_madmk_f32 v1, v2, 0xcf800000, v1
	v_cvt_u32_f32_e32 v2, v2
	v_cvt_u32_f32_e32 v1, v1
	v_readfirstlane_b32 s15, v2
	v_readfirstlane_b32 s16, v1
	s_mul_i32 s17, s6, s15
	s_mul_hi_u32 s20, s6, s16
	s_mul_i32 s19, s7, s16
	s_add_i32 s17, s20, s17
	s_add_i32 s17, s17, s19
	s_mul_i32 s21, s6, s16
	s_mul_hi_u32 s19, s16, s17
	s_mul_i32 s20, s16, s17
	s_mul_hi_u32 s16, s16, s21
	s_add_u32 s16, s16, s20
	s_addc_u32 s19, 0, s19
	s_mul_hi_u32 s22, s15, s21
	s_mul_i32 s21, s15, s21
	s_add_u32 s16, s16, s21
	s_mul_hi_u32 s20, s15, s17
	s_addc_u32 s16, s19, s22
	s_addc_u32 s19, s20, 0
	s_mul_i32 s17, s15, s17
	s_add_u32 s16, s16, s17
	s_addc_u32 s17, 0, s19
	v_add_co_u32_e32 v1, vcc, s16, v1
	s_cmp_lg_u64 vcc, 0
	s_addc_u32 s15, s15, s17
	v_readfirstlane_b32 s17, v1
	s_mul_i32 s16, s6, s15
	s_mul_hi_u32 s19, s6, s17
	s_add_i32 s16, s19, s16
	s_mul_i32 s7, s7, s17
	s_add_i32 s16, s16, s7
	s_mul_i32 s6, s6, s17
	s_mul_hi_u32 s19, s15, s6
	s_mul_i32 s20, s15, s6
	s_mul_i32 s22, s17, s16
	s_mul_hi_u32 s6, s17, s6
	s_mul_hi_u32 s21, s17, s16
	s_add_u32 s6, s6, s22
	s_addc_u32 s17, 0, s21
	s_add_u32 s6, s6, s20
	s_mul_hi_u32 s7, s15, s16
	s_addc_u32 s6, s17, s19
	s_addc_u32 s7, s7, 0
	s_mul_i32 s16, s15, s16
	s_add_u32 s6, s6, s16
	s_addc_u32 s7, 0, s7
	v_add_co_u32_e32 v1, vcc, s6, v1
	s_cmp_lg_u64 vcc, 0
	s_addc_u32 s6, s15, s7
	v_readfirstlane_b32 s15, v1
	s_mul_hi_u32 s7, s18, s6
	s_mul_i32 s6, s18, s6
	s_mul_hi_u32 s15, s18, s15
	s_add_u32 s6, s15, s6
	s_addc_u32 s7, 0, s7
	s_add_u32 s6, s6, 0
	s_addc_u32 s6, s7, 0
	s_addc_u32 s7, 0, 0
	s_add_u32 s15, s6, 0
	s_addc_u32 s16, 0, s7
	s_mul_i32 s6, s12, s16
	s_mul_hi_u32 s7, s12, s15
	s_add_i32 s6, s7, s6
	s_mul_i32 s7, s13, s15
	s_add_i32 s17, s6, s7
	s_mul_i32 s7, s12, s15
	v_mov_b32_e32 v1, s7
	s_sub_i32 s6, 0, s17
	v_sub_co_u32_e32 v1, vcc, s18, v1
	s_cmp_lg_u64 vcc, 0
	s_subb_u32 s19, s6, s13
	v_subrev_co_u32_e64 v2, s[6:7], s12, v1
	s_cmp_lg_u64 s[6:7], 0
	s_subb_u32 s6, s19, 0
	s_cmp_ge_u32 s6, s13
	v_readfirstlane_b32 s19, v2
	s_cselect_b32 s7, -1, 0
	s_cmp_ge_u32 s19, s12
	s_cselect_b32 s19, -1, 0
	s_cmp_eq_u32 s6, s13
	s_cselect_b32 s6, s19, s7
	s_add_u32 s7, s15, 1
	s_addc_u32 s19, s16, 0
	s_add_u32 s20, s15, 2
	s_addc_u32 s21, s16, 0
	s_cmp_lg_u32 s6, 0
	s_cselect_b32 s6, s20, s7
	s_cselect_b32 s7, s21, s19
	s_cmp_lg_u64 vcc, 0
	s_subb_u32 s17, 0, s17
	s_cmp_ge_u32 s17, s13
	v_readfirstlane_b32 s20, v1
	s_cselect_b32 s19, -1, 0
	s_cmp_ge_u32 s20, s12
	s_cselect_b32 s12, -1, 0
	s_cmp_eq_u32 s17, s13
	s_cselect_b32 s12, s12, s19
	s_cmp_lg_u32 s12, 0
	s_cselect_b32 s7, s7, s16
	s_cselect_b32 s6, s6, s15
	s_xor_b64 s[6:7], s[6:7], s[8:9]
	s_sub_u32 s6, s6, s8
	s_subb_u32 s7, s7, s9
	s_cbranch_execnz .LBB15_3
.LBB15_2:
	v_cvt_f32_u32_e32 v1, s14
	s_sub_i32 s6, 0, s14
	s_mov_b32 s7, 0
	v_rcp_iflag_f32_e32 v1, v1
	v_mul_f32_e32 v1, 0x4f7ffffe, v1
	v_cvt_u32_f32_e32 v1, v1
	v_readfirstlane_b32 s8, v1
	s_mul_i32 s6, s6, s8
	s_mul_hi_u32 s6, s8, s6
	s_add_i32 s8, s8, s6
	s_mul_hi_u32 s6, s18, s8
	s_mul_i32 s9, s6, s14
	s_sub_i32 s9, s18, s9
	s_add_i32 s8, s6, 1
	s_sub_i32 s10, s9, s14
	s_cmp_ge_u32 s9, s14
	s_cselect_b32 s6, s8, s6
	s_cselect_b32 s9, s10, s9
	s_add_i32 s8, s6, 1
	s_cmp_ge_u32 s9, s14
	s_cselect_b32 s6, s8, s6
.LBB15_3:
	s_load_dwordx2 s[8:9], s[4:5], 0x20
	s_load_dword s19, s[4:5], 0x28
	s_lshl_b64 s[10:11], s[6:7], 2
	s_mul_i32 s6, s6, s14
	s_waitcnt lgkmcnt(0)
	s_add_u32 s8, s8, s10
	s_addc_u32 s9, s9, s11
	s_load_dword s7, s[8:9], 0x0
	s_sub_i32 s6, s18, s6
	v_cmp_ne_u32_e64 s[8:9], 0, v0
	s_waitcnt lgkmcnt(0)
	s_sub_i32 s7, s7, s14
	s_add_i32 s6, s7, s6
	s_add_i32 s33, s6, 1
	v_cmp_eq_u32_e64 s[6:7], 0, v0
	s_and_saveexec_b64 s[10:11], s[6:7]
	s_cbranch_execz .LBB15_5
; %bb.4:
	v_mov_b32_e32 v5, 0
	v_mov_b32_e32 v2, s19
	;; [unrolled: 1-line block ×4, first 2 shown]
	ds_write_b128 v5, v[2:5]
	ds_write2_b32 v5, v5, v5 offset0:96 offset1:128
.LBB15_5:
	s_or_b64 exec, exec, s[10:11]
	s_load_dwordx2 s[14:15], s[4:5], 0x38
	s_ashr_i32 s10, s19, 31
	s_mul_hi_u32 s11, s19, s18
	s_mul_i32 s10, s10, s18
	s_add_i32 s11, s11, s10
	s_mul_i32 s10, s19, s18
	s_lshl_b64 s[16:17], s[10:11], 2
	s_waitcnt lgkmcnt(0)
	s_add_u32 s36, s14, s16
	s_addc_u32 s37, s15, s17
	s_cmp_gt_i32 s33, s19
	s_mov_b64 s[10:11], -1
	s_barrier
	s_cbranch_scc0 .LBB15_8
; %bb.6:
	s_andn2_b64 vcc, exec, s[10:11]
	s_cbranch_vccz .LBB15_17
.LBB15_7:
	s_endpgm
.LBB15_8:
	v_cmp_gt_i32_e32 vcc, s19, v0
	s_and_saveexec_b64 s[12:13], vcc
	s_cbranch_execz .LBB15_16
; %bb.9:
	v_xad_u32 v1, v0, -1, s19
	s_movk_i32 s10, 0x3ff
	v_cmp_lt_u32_e32 vcc, s10, v1
	s_mov_b64 s[10:11], -1
	v_mov_b32_e32 v2, v0
	s_and_saveexec_b64 s[20:21], vcc
	s_cbranch_execz .LBB15_13
; %bb.10:
	v_lshrrev_b32_e32 v1, 10, v1
	v_add_u32_e32 v6, 1, v1
	v_and_b32_e32 v7, 0x7ffffe, v6
	v_or_b32_e32 v1, 0x400, v0
	s_mov_b32 s24, s33
	s_mov_b64 s[22:23], 0
	v_mov_b32_e32 v8, s37
	v_mov_b32_e32 v3, 0
	;; [unrolled: 1-line block ×3, first 2 shown]
	v_pk_mov_b32 v[4:5], v[0:1], v[0:1] op_sel:[0,1]
.LBB15_11:                              ; =>This Inner Loop Header: Depth=1
	v_cmp_gt_i32_e32 vcc, s24, v5
	v_mov_b32_e32 v2, v4
	v_cndmask_b32_e32 v1, -1, v5, vcc
	v_cmp_gt_i32_e32 vcc, s33, v4
	v_add_u32_e32 v9, -2, v9
	v_lshlrev_b64 v[10:11], 2, v[2:3]
	v_mov_b32_e32 v2, v5
	v_cndmask_b32_e32 v14, -1, v4, vcc
	v_cmp_eq_u32_e32 vcc, 0, v9
	v_add_co_u32_e64 v10, s[10:11], s36, v10
	v_lshlrev_b64 v[12:13], 2, v[2:3]
	v_add_u32_e32 v4, 0x800, v4
	v_add_u32_e32 v5, 0x800, v5
	v_addc_co_u32_e64 v11, s[10:11], v8, v11, s[10:11]
	s_or_b64 s[22:23], vcc, s[22:23]
	v_add_co_u32_e32 v12, vcc, s36, v12
	v_addc_co_u32_e32 v13, vcc, v8, v13, vcc
	global_store_dword v[10:11], v14, off
	global_store_dword v[12:13], v1, off
	s_andn2_b64 exec, exec, s[22:23]
	s_cbranch_execnz .LBB15_11
; %bb.12:
	s_or_b64 exec, exec, s[22:23]
	v_cmp_ne_u32_e32 vcc, v6, v7
	v_lshl_or_b32 v2, v7, 10, v0
	s_orn2_b64 s[10:11], vcc, exec
.LBB15_13:
	s_or_b64 exec, exec, s[20:21]
	s_and_b64 exec, exec, s[10:11]
	s_cbranch_execz .LBB15_16
; %bb.14:
	v_mov_b32_e32 v3, 0
	s_add_u32 s10, s14, s16
	v_lshlrev_b64 v[4:5], 2, v[2:3]
	s_addc_u32 s11, s15, s17
	v_mov_b32_e32 v1, s11
	v_add_co_u32_e32 v4, vcc, s10, v4
	v_addc_co_u32_e32 v5, vcc, v1, v5, vcc
	s_mov_b64 s[14:15], 0
.LBB15_15:                              ; =>This Inner Loop Header: Depth=1
	v_cmp_gt_i32_e32 vcc, s33, v2
	v_cndmask_b32_e32 v1, -1, v2, vcc
	v_add_u32_e32 v2, 0x400, v2
	global_store_dword v[4:5], v1, off
	v_add_co_u32_e32 v4, vcc, 0x1000, v4
	v_cmp_le_i32_e64 s[10:11], s19, v2
	s_or_b64 s[14:15], s[10:11], s[14:15]
	v_addc_co_u32_e32 v5, vcc, 0, v5, vcc
	s_andn2_b64 exec, exec, s[14:15]
	s_cbranch_execnz .LBB15_15
.LBB15_16:
	s_or_b64 exec, exec, s[12:13]
	s_cbranch_execnz .LBB15_7
.LBB15_17:
	s_load_dword s12, s[4:5], 0x64
	s_movk_i32 s10, 0x1000
	v_lshlrev_b32_e32 v32, 2, v0
	s_waitcnt lgkmcnt(0)
	s_and_b32 s38, s12, 0xffff
	v_cvt_f32_u32_e32 v1, s38
	v_add_u32_e32 v2, s38, v0
	v_mov_b32_e32 v3, s38
	s_sub_i32 s13, 0, s38
	v_rcp_iflag_f32_e32 v1, v1
	v_cmp_gt_u32_e32 vcc, s10, v2
	v_max_u32_e32 v4, 0x1000, v2
	v_addc_co_u32_e64 v2, s[10:11], v0, v3, vcc
	v_mul_f32_e32 v1, 0x4f7ffffe, v1
	v_cvt_u32_f32_e32 v1, v1
	v_sub_u32_e32 v2, v4, v2
	v_mul_lo_u32 v3, s13, v1
	v_mul_hi_u32 v3, v1, v3
	v_add_u32_e32 v1, v1, v3
	v_mul_hi_u32 v1, v2, v1
	v_mul_lo_u32 v3, v1, s38
	v_sub_u32_e32 v2, v2, v3
	v_add_u32_e32 v4, 1, v1
	v_cmp_le_u32_e64 s[10:11], s38, v2
	v_subrev_u32_e32 v3, s38, v2
	v_cndmask_b32_e64 v1, v1, v4, s[10:11]
	v_cndmask_b32_e64 v2, v2, v3, s[10:11]
	v_add_u32_e32 v3, 1, v1
	v_cmp_le_u32_e64 s[10:11], s38, v2
	v_cndmask_b32_e64 v1, v1, v3, s[10:11]
	v_addc_co_u32_e64 v36, s[10:11], 0, v1, vcc
	v_addc_co_u32_e32 v33, vcc, 1, v1, vcc
	v_cmp_lt_u32_e32 vcc, 1, v33
	v_cmp_eq_u16_e64 s[10:11], s12, 1
	s_and_b64 s[28:29], vcc, s[10:11]
	s_mov_b64 s[12:13], -1
	v_mov_b32_e32 v1, v0
	v_mov_b32_e32 v2, v32
	s_and_saveexec_b64 s[10:11], s[28:29]
	s_cbranch_execz .LBB15_28
; %bb.18:
	v_add_u32_e32 v2, -1, v36
	v_lshrrev_b32_e32 v1, 1, v2
	v_add_u32_e32 v1, 1, v1
	v_cmp_lt_u32_e32 vcc, 13, v2
	v_mov_b32_e32 v5, 0
	s_and_saveexec_b64 s[12:13], vcc
	s_cbranch_execz .LBB15_22
; %bb.19:
	v_and_b32_e32 v2, -8, v1
	v_add_u32_e32 v3, 0x4480, v32
	s_mov_b32 s16, 0
	s_mov_b64 s[14:15], 0
	v_mov_b32_e32 v4, 0
.LBB15_20:                              ; =>This Inner Loop Header: Depth=1
	v_add_u32_e32 v2, -8, v2
	s_add_i32 s16, s16, 16
	v_cmp_eq_u32_e32 vcc, 0, v2
	ds_write2_b32 v3, v4, v4 offset1:1
	ds_write2_b32 v3, v4, v4 offset0:2 offset1:3
	ds_write2_b32 v3, v4, v4 offset0:4 offset1:5
	;; [unrolled: 1-line block ×7, first 2 shown]
	v_add_u32_e32 v3, 64, v3
	s_or_b64 s[14:15], vcc, s[14:15]
	v_mov_b32_e32 v5, s16
	s_andn2_b64 exec, exec, s[14:15]
	s_cbranch_execnz .LBB15_20
; %bb.21:
	s_or_b64 exec, exec, s[14:15]
.LBB15_22:
	s_or_b64 exec, exec, s[12:13]
	v_and_b32_e32 v1, 7, v1
	v_cmp_ne_u32_e32 vcc, 0, v1
	s_and_saveexec_b64 s[12:13], vcc
	s_cbranch_execz .LBB15_25
; %bb.23:
	v_lshlrev_b32_e32 v2, 2, v5
	s_movk_i32 s14, 0x4480
	v_add3_u32 v2, v2, v32, s14
	s_mov_b64 s[14:15], 0
	v_mov_b32_e32 v3, 0
.LBB15_24:                              ; =>This Inner Loop Header: Depth=1
	v_add_u32_e32 v1, -1, v1
	v_cmp_eq_u32_e32 vcc, 0, v1
	ds_write2_b32 v2, v3, v3 offset1:1
	s_or_b64 s[14:15], vcc, s[14:15]
	v_add_u32_e32 v2, 8, v2
	s_andn2_b64 exec, exec, s[14:15]
	s_cbranch_execnz .LBB15_24
.LBB15_25:
	s_or_b64 exec, exec, s[12:13]
	v_and_b32_e32 v3, -2, v33
	v_cmp_ne_u32_e32 vcc, v33, v3
	s_mov_b64 s[12:13], 0
                                        ; implicit-def: $vgpr1
                                        ; implicit-def: $vgpr2
	s_and_saveexec_b64 s[14:15], vcc
	s_xor_b64 s[14:15], exec, s[14:15]
; %bb.26:
	v_add_u32_e32 v1, v0, v3
	s_mov_b64 s[12:13], exec
	v_lshlrev_b32_e32 v2, 2, v1
; %bb.27:
	s_or_b64 exec, exec, s[14:15]
	s_orn2_b64 s[12:13], s[12:13], exec
.LBB15_28:
	s_or_b64 exec, exec, s[10:11]
	s_lshl_b32 s39, s38, 2
	s_and_saveexec_b64 s[10:11], s[12:13]
	s_cbranch_execz .LBB15_31
; %bb.29:
	v_add_u32_e32 v2, 0x4480, v2
	s_mov_b64 s[12:13], 0
	v_mov_b32_e32 v3, 0
	s_movk_i32 s14, 0xfff
.LBB15_30:                              ; =>This Inner Loop Header: Depth=1
	v_add_u32_e32 v1, s38, v1
	v_cmp_lt_u32_e32 vcc, s14, v1
	ds_write_b32 v2, v3
	s_or_b64 s[12:13], vcc, s[12:13]
	v_add_u32_e32 v2, s39, v2
	s_andn2_b64 exec, exec, s[12:13]
	s_cbranch_execnz .LBB15_30
.LBB15_31:
	s_or_b64 exec, exec, s[10:11]
	s_and_saveexec_b64 s[10:11], s[6:7]
	s_cbranch_execz .LBB15_33
; %bb.32:
	v_mov_b32_e32 v1, 0
	ds_write_b32 v1, v1 offset:128
.LBB15_33:
	s_or_b64 exec, exec, s[10:11]
	s_load_dwordx2 s[10:11], s[4:5], 0x10
	s_load_dwordx4 s[20:23], s[4:5], 0x0
	s_mov_b32 s13, 0
	v_mov_b32_e32 v1, 0
	s_mov_b64 s[14:15], 0
	s_waitcnt lgkmcnt(0)
	s_mul_i32 s11, s18, s11
	s_mul_hi_u32 s12, s18, s10
	s_mul_i32 s10, s18, s10
	s_add_i32 s11, s12, s11
	s_lshl_b64 s[24:25], s[10:11], 2
	s_add_u32 s41, s20, s24
	s_addc_u32 s40, s21, s25
	s_and_b32 s12, s41, 15
	s_sub_i32 s10, 16, s12
	s_lshr_b32 s10, s10, 2
	s_cmp_lg_u64 s[12:13], 0
	s_cselect_b32 s10, s10, 0
	s_min_i32 s12, s10, s33
	s_ashr_i32 s13, s12, 31
	s_lshl_b64 s[10:11], s[12:13], 2
	s_add_u32 s42, s41, s10
	s_addc_u32 s43, s40, s11
	s_sub_i32 s10, s33, s12
	s_ashr_i32 s11, s10, 31
	s_lshr_b32 s11, s11, 30
	s_add_i32 s10, s10, s11
	s_ashr_i32 s26, s10, 2
	s_ashr_i32 s27, s26, 31
	s_lshl_b32 s13, s38, 4
	s_add_u32 s45, s42, s13
	s_addc_u32 s47, s43, 0
	v_mad_u64_u32 v[22:23], s[10:11], s38, 3, v[0:1]
	s_add_u32 s46, s45, s13
	s_mul_i32 s44, s38, 3
	v_cmp_gt_u64_e64 s[16:17], s[26:27], v[22:23]
	s_addc_u32 s48, s47, 0
	v_mov_b32_e32 v10, v0
	s_barrier
	s_and_saveexec_b64 s[20:21], s[16:17]
	s_cbranch_execz .LBB15_37
; %bb.34:
	v_mov_b32_e32 v14, s43
	v_mov_b32_e32 v15, s47
	;; [unrolled: 1-line block ×5, first 2 shown]
	v_pk_mov_b32 v[12:13], v[22:23], v[22:23] op_sel:[0,1]
	v_pk_mov_b32 v[10:11], v[0:1], v[0:1] op_sel:[0,1]
.LBB15_35:                              ; =>This Inner Loop Header: Depth=1
	v_lshlrev_b64 v[6:7], 4, v[10:11]
	v_add_co_u32_e32 v2, vcc, s42, v6
	v_addc_co_u32_e32 v3, vcc, v14, v7, vcc
	global_load_dwordx4 v[2:5], v[2:3], off
	v_lshlrev_b64 v[8:9], 4, v[12:13]
	v_add_co_u32_e32 v12, vcc, s45, v6
	v_addc_co_u32_e32 v13, vcc, v15, v7, vcc
	global_load_dwordx4 v[24:27], v[12:13], off
	v_add_co_u32_e32 v20, vcc, s46, v6
	v_addc_co_u32_e32 v21, vcc, v18, v7, vcc
	v_add_co_u32_e32 v28, vcc, s42, v8
	v_addc_co_u32_e32 v29, vcc, v14, v9, vcc
	v_add_u32_e32 v10, s39, v10
	v_ashrrev_i32_e32 v11, 31, v10
	s_waitcnt vmcnt(1)
	v_cmp_gt_i32_e32 vcc, 0, v2
	v_cndmask_b32_e64 v6, v16, 0, vcc
	v_cmp_gt_i32_e32 vcc, 0, v3
	v_cndmask_b32_e64 v7, v16, 0, vcc
	;; [unrolled: 2-line block ×4, first 2 shown]
	v_xor_b32_e32 v2, v6, v2
	v_xor_b32_e32 v3, v7, v3
	;; [unrolled: 1-line block ×4, first 2 shown]
	v_lshrrev_b32_e32 v2, 18, v2
	v_lshrrev_b32_e32 v3, 18, v3
	;; [unrolled: 1-line block ×4, first 2 shown]
	v_and_b32_e32 v2, 0x3ffc, v2
	v_and_b32_e32 v3, 0x3ffc, v3
	;; [unrolled: 1-line block ×4, first 2 shown]
	ds_add_u32 v2, v17 offset:17536
	ds_add_u32 v3, v17 offset:17536
	;; [unrolled: 1-line block ×4, first 2 shown]
	global_load_dwordx4 v[6:9], v[20:21], off
	global_load_dwordx4 v[2:5], v[28:29], off
	s_waitcnt vmcnt(2)
	v_cmp_gt_i32_e64 s[10:11], 0, v24
	v_cndmask_b32_e64 v13, v16, 0, s[10:11]
	v_cmp_gt_i32_e64 s[10:11], 0, v25
	v_cndmask_b32_e64 v19, v16, 0, s[10:11]
	;; [unrolled: 2-line block ×4, first 2 shown]
	v_xor_b32_e32 v13, v13, v24
	v_xor_b32_e32 v19, v19, v25
	v_xor_b32_e32 v20, v20, v26
	v_xor_b32_e32 v21, v21, v27
	v_lshrrev_b32_e32 v13, 18, v13
	v_lshrrev_b32_e32 v19, 18, v19
	;; [unrolled: 1-line block ×4, first 2 shown]
	v_and_b32_e32 v13, 0x3ffc, v13
	v_and_b32_e32 v19, 0x3ffc, v19
	;; [unrolled: 1-line block ×4, first 2 shown]
	ds_add_u32 v13, v17 offset:17536
	ds_add_u32 v19, v17 offset:17536
	;; [unrolled: 1-line block ×4, first 2 shown]
	v_add_co_u32_e32 v12, vcc, s44, v10
	s_waitcnt vmcnt(1)
	v_cmp_gt_i32_e64 s[10:11], 0, v6
	v_cndmask_b32_e64 v13, v16, 0, s[10:11]
	v_cmp_gt_i32_e64 s[10:11], 0, v7
	v_cndmask_b32_e64 v19, v16, 0, s[10:11]
	;; [unrolled: 2-line block ×4, first 2 shown]
	s_waitcnt vmcnt(0)
	v_cmp_gt_i32_e64 s[10:11], 0, v2
	v_cndmask_b32_e64 v24, v16, 0, s[10:11]
	v_cmp_gt_i32_e64 s[10:11], 0, v3
	v_cndmask_b32_e64 v25, v16, 0, s[10:11]
	v_cmp_gt_i32_e64 s[10:11], 0, v4
	v_cndmask_b32_e64 v26, v16, 0, s[10:11]
	v_cmp_gt_i32_e64 s[10:11], 0, v5
	v_cndmask_b32_e64 v27, v16, 0, s[10:11]
	v_xor_b32_e32 v6, v13, v6
	v_xor_b32_e32 v7, v19, v7
	;; [unrolled: 1-line block ×8, first 2 shown]
	v_lshrrev_b32_e32 v6, 18, v6
	v_lshrrev_b32_e32 v7, 18, v7
	;; [unrolled: 1-line block ×8, first 2 shown]
	v_and_b32_e32 v6, 0x3ffc, v6
	v_and_b32_e32 v7, 0x3ffc, v7
	;; [unrolled: 1-line block ×8, first 2 shown]
	ds_add_u32 v6, v17 offset:17536
	ds_add_u32 v7, v17 offset:17536
	;; [unrolled: 1-line block ×8, first 2 shown]
	v_addc_co_u32_e32 v13, vcc, 0, v11, vcc
	v_cmp_le_u64_e32 vcc, s[26:27], v[12:13]
	s_or_b64 s[14:15], vcc, s[14:15]
	s_andn2_b64 exec, exec, s[14:15]
	s_cbranch_execnz .LBB15_35
; %bb.36:
	s_or_b64 exec, exec, s[14:15]
.LBB15_37:
	s_or_b64 exec, exec, s[20:21]
	v_cmp_gt_i32_e32 vcc, s26, v10
	s_and_saveexec_b64 s[10:11], vcc
	s_cbranch_execz .LBB15_40
; %bb.38:
	s_mov_b64 s[14:15], 0
	v_mov_b32_e32 v2, s43
	v_mov_b32_e32 v3, 0x7ff00000
	;; [unrolled: 1-line block ×3, first 2 shown]
.LBB15_39:                              ; =>This Inner Loop Header: Depth=1
	v_ashrrev_i32_e32 v11, 31, v10
	v_lshlrev_b64 v[6:7], 4, v[10:11]
	v_add_co_u32_e32 v6, vcc, s42, v6
	v_addc_co_u32_e32 v7, vcc, v2, v7, vcc
	global_load_dwordx4 v[6:9], v[6:7], off
	v_add_u32_e32 v10, s38, v10
	s_waitcnt vmcnt(0)
	v_cmp_gt_i32_e32 vcc, 0, v6
	v_cndmask_b32_e64 v5, v3, 0, vcc
	v_cmp_gt_i32_e32 vcc, 0, v7
	v_cndmask_b32_e64 v11, v3, 0, vcc
	;; [unrolled: 2-line block ×3, first 2 shown]
	v_cmp_gt_i32_e32 vcc, 0, v9
	v_xor_b32_e32 v5, v5, v6
	v_cndmask_b32_e64 v13, v3, 0, vcc
	v_xor_b32_e32 v6, v11, v7
	v_xor_b32_e32 v7, v12, v8
	v_lshrrev_b32_e32 v5, 18, v5
	v_xor_b32_e32 v8, v13, v9
	v_lshrrev_b32_e32 v6, 18, v6
	v_lshrrev_b32_e32 v7, 18, v7
	v_and_b32_e32 v5, 0x3ffc, v5
	v_lshrrev_b32_e32 v8, 18, v8
	v_and_b32_e32 v6, 0x3ffc, v6
	v_and_b32_e32 v7, 0x3ffc, v7
	ds_add_u32 v5, v4 offset:17536
	ds_add_u32 v6, v4 offset:17536
	;; [unrolled: 1-line block ×3, first 2 shown]
	v_and_b32_e32 v5, 0x3ffc, v8
	ds_add_u32 v5, v4 offset:17536
	v_cmp_le_i32_e32 vcc, s26, v10
	s_or_b64 s[14:15], vcc, s[14:15]
	s_andn2_b64 exec, exec, s[14:15]
	s_cbranch_execnz .LBB15_39
.LBB15_40:
	s_or_b64 exec, exec, s[10:11]
	v_lshlrev_b32_e32 v2, 2, v0
	v_mov_b32_e32 v3, s40
	v_add_co_u32_e32 v24, vcc, s41, v2
	v_cmp_gt_u32_e64 s[10:11], s12, v0
	v_addc_co_u32_e32 v25, vcc, 0, v3, vcc
	s_and_saveexec_b64 s[14:15], s[10:11]
	s_cbranch_execz .LBB15_42
; %bb.41:
	global_load_dword v2, v[24:25], off
	v_mov_b32_e32 v3, 0x7ff00000
	s_waitcnt vmcnt(0)
	v_cmp_gt_i32_e32 vcc, 0, v2
	v_cndmask_b32_e64 v3, v3, 0, vcc
	v_xor_b32_e32 v2, v3, v2
	v_lshrrev_b32_e32 v2, 18, v2
	v_and_b32_e32 v2, 0x3ffc, v2
	v_mov_b32_e32 v3, 1
	ds_add_u32 v2, v3 offset:17536
.LBB15_42:
	s_or_b64 exec, exec, s[14:15]
	s_lshl_b32 s13, s26, 2
	s_add_i32 s13, s13, s12
	v_add_u32_e32 v2, s13, v0
	v_ashrrev_i32_e32 v3, 31, v2
	v_cmp_gt_i32_e64 s[12:13], s33, v2
	v_lshlrev_b64 v[2:3], 2, v[2:3]
	v_mov_b32_e32 v4, s40
	v_add_co_u32_e32 v26, vcc, s41, v2
	v_addc_co_u32_e32 v27, vcc, v4, v3, vcc
	s_and_saveexec_b64 s[14:15], s[12:13]
	s_cbranch_execz .LBB15_44
; %bb.43:
	global_load_dword v2, v[26:27], off
	v_mov_b32_e32 v3, 0x7ff00000
	s_waitcnt vmcnt(0)
	v_cmp_gt_i32_e32 vcc, 0, v2
	v_cndmask_b32_e64 v3, v3, 0, vcc
	v_xor_b32_e32 v2, v3, v2
	v_lshrrev_b32_e32 v2, 18, v2
	v_and_b32_e32 v2, 0x3ffc, v2
	v_mov_b32_e32 v3, 1
	ds_add_u32 v2, v3 offset:17536
.LBB15_44:
	s_or_b64 exec, exec, s[14:15]
	s_mov_b64 s[14:15], src_shared_base
	v_add_u32_e32 v14, 0x4480, v32
	v_mov_b32_e32 v15, s15
	v_add_u32_e32 v16, 0x5480, v32
	v_mov_b32_e32 v17, s15
	;; [unrolled: 2-line block ×4, first 2 shown]
	s_waitcnt lgkmcnt(0)
	s_barrier
	flat_load_dword v2, v[14:15] glc
	s_waitcnt vmcnt(0)
	flat_load_dword v3, v[16:17] glc
	s_waitcnt vmcnt(0)
	;; [unrolled: 2-line block ×4, first 2 shown]
	v_lshrrev_b32_e32 v7, 3, v0
	v_or_b32_e32 v8, 0x400, v0
	v_or_b32_e32 v9, 0x800, v0
	;; [unrolled: 1-line block ×3, first 2 shown]
	v_lshrrev_b32_e32 v11, 1, v0
	v_and_b32_e32 v12, 0x7c, v7
	v_lshrrev_b32_e32 v13, 3, v8
	v_lshrrev_b32_e32 v9, 3, v9
	;; [unrolled: 1-line block ×3, first 2 shown]
	v_mov_b32_e32 v6, 0x280
	v_add_lshl_u32 v7, v7, v32, 2
	v_lshl_add_u32 v11, v0, 4, v11
	v_add_u32_e32 v8, v32, v12
	v_and_b32_e32 v12, 0xfc, v13
	v_and_b32_e32 v13, 0x17c, v9
	;; [unrolled: 1-line block ×3, first 2 shown]
	v_lshl_add_u32 v34, v11, 2, v6
	v_add_u32_e32 v9, v12, v32
	v_add_u32_e32 v10, v32, v13
	;; [unrolled: 1-line block ×3, first 2 shown]
	v_cmp_gt_u32_e64 s[14:15], 64, v0
	s_waitcnt lgkmcnt(0)
	ds_write_b32 v8, v2 offset:640
	ds_write_b32 v9, v3 offset:4736
	;; [unrolled: 1-line block ×4, first 2 shown]
	s_waitcnt lgkmcnt(0)
	s_barrier
	ds_read2_b32 v[4:5], v7 offset0:160 offset1:161
	ds_read2_b32 v[2:3], v7 offset0:162 offset1:163
	s_waitcnt lgkmcnt(0)
	s_barrier
	v_add_u32_e32 v12, v5, v4
	v_add3_u32 v12, v12, v2, v3
	ds_write_b32 v8, v12 offset:640
	s_waitcnt lgkmcnt(0)
	s_barrier
	s_and_saveexec_b64 s[20:21], s[14:15]
	s_cbranch_execz .LBB15_46
; %bb.45:
	ds_read2_b32 v[28:29], v34 offset1:1
	ds_read2_b32 v[30:31], v34 offset0:2 offset1:3
	ds_read2_b32 v[38:39], v34 offset0:4 offset1:5
	;; [unrolled: 1-line block ×7, first 2 shown]
	s_waitcnt lgkmcnt(7)
	v_add_u32_e32 v13, v29, v28
	s_waitcnt lgkmcnt(6)
	v_add3_u32 v13, v13, v30, v31
	s_waitcnt lgkmcnt(5)
	v_add3_u32 v13, v13, v38, v39
	;; [unrolled: 2-line block ×5, first 2 shown]
	v_mbcnt_lo_u32_b32 v35, -1, 0
	s_waitcnt lgkmcnt(1)
	v_add3_u32 v13, v13, v46, v47
	v_mbcnt_hi_u32_b32 v35, -1, v35
	s_waitcnt lgkmcnt(0)
	v_add3_u32 v13, v13, v48, v49
	v_and_b32_e32 v37, 15, v35
	v_cmp_ne_u32_e32 vcc, 0, v37
	v_mov_b32_dpp v50, v13 row_shr:1 row_mask:0xf bank_mask:0xf
	v_cndmask_b32_e32 v50, 0, v50, vcc
	v_add_u32_e32 v13, v50, v13
	v_cmp_lt_u32_e32 vcc, 1, v37
	s_nop 0
	v_mov_b32_dpp v50, v13 row_shr:2 row_mask:0xf bank_mask:0xf
	v_cndmask_b32_e32 v50, 0, v50, vcc
	v_add_u32_e32 v13, v13, v50
	v_cmp_lt_u32_e32 vcc, 3, v37
	s_nop 0
	;; [unrolled: 5-line block ×3, first 2 shown]
	v_mov_b32_dpp v50, v13 row_shr:8 row_mask:0xf bank_mask:0xf
	v_cndmask_b32_e32 v37, 0, v50, vcc
	v_add_u32_e32 v13, v13, v37
	v_bfe_i32 v50, v35, 4, 1
	v_cmp_lt_u32_e32 vcc, 31, v35
	v_mov_b32_dpp v37, v13 row_bcast:15 row_mask:0xf bank_mask:0xf
	v_and_b32_e32 v37, v50, v37
	v_add_u32_e32 v13, v13, v37
	v_and_b32_e32 v50, 64, v35
	s_nop 0
	v_mov_b32_dpp v37, v13 row_bcast:31 row_mask:0xf bank_mask:0xf
	v_cndmask_b32_e32 v37, 0, v37, vcc
	v_add_u32_e32 v13, v13, v37
	v_add_u32_e32 v37, -1, v35
	v_cmp_lt_i32_e32 vcc, v37, v50
	v_cndmask_b32_e32 v35, v37, v35, vcc
	v_lshlrev_b32_e32 v35, 2, v35
	ds_bpermute_b32 v13, v35, v13
	s_waitcnt lgkmcnt(0)
	v_add_u32_e32 v13, v13, v28
	v_cndmask_b32_e64 v12, v13, v12, s[6:7]
	v_add_u32_e32 v13, v12, v29
	ds_write2_b32 v34, v12, v13 offset1:1
	v_add_u32_e32 v12, v13, v30
	v_add_u32_e32 v13, v12, v31
	ds_write2_b32 v34, v12, v13 offset0:2 offset1:3
	v_add_u32_e32 v12, v13, v38
	v_add_u32_e32 v13, v12, v39
	ds_write2_b32 v34, v12, v13 offset0:4 offset1:5
	;; [unrolled: 3-line block ×7, first 2 shown]
.LBB15_46:
	s_or_b64 exec, exec, s[20:21]
	v_add_u32_e32 v41, 0x280, v7
	v_add_u32_e32 v7, -1, v0
	v_add_u32_e32 v37, 0x280, v8
	v_lshrrev_b32_e32 v8, 5, v7
	v_add_u32_e32 v7, v8, v7
	v_add_u32_e32 v38, 0x280, v9
	;; [unrolled: 1-line block ×4, first 2 shown]
	v_lshl_add_u32 v42, v7, 2, v6
	v_mov_b32_e32 v6, 0
	v_mov_b32_e32 v7, 0
	s_waitcnt lgkmcnt(0)
	s_barrier
	s_and_saveexec_b64 s[20:21], s[8:9]
	s_cbranch_execz .LBB15_48
; %bb.47:
	ds_read_b32 v7, v42
.LBB15_48:
	s_or_b64 exec, exec, s[20:21]
	s_waitcnt lgkmcnt(0)
	v_add_u32_e32 v4, v7, v4
	v_add_u32_e32 v5, v4, v5
	;; [unrolled: 1-line block ×4, first 2 shown]
	s_barrier
	ds_write2_b32 v41, v4, v5 offset1:1
	ds_write2_b32 v41, v2, v3 offset0:2 offset1:3
	s_waitcnt lgkmcnt(0)
	s_barrier
	ds_read_b32 v2, v37
	ds_read_b32 v3, v38 offset:4096
	ds_read_b32 v4, v39 offset:8192
	;; [unrolled: 1-line block ×3, first 2 shown]
	s_waitcnt lgkmcnt(3)
	flat_store_dword v[14:15], v2
	s_waitcnt vmcnt(0) lgkmcnt(0)
	flat_store_dword v[16:17], v3
	s_waitcnt vmcnt(0)
	flat_store_dword v[18:19], v4
	s_waitcnt vmcnt(0)
	flat_store_dword v[20:21], v5
	s_waitcnt vmcnt(0) lgkmcnt(0)
	s_barrier
	ds_read_b32 v2, v6 offset:12
	v_add_u32_e32 v35, 0x447c, v32
	v_lshlrev_b32_e32 v3, 20, v0
	s_lshl_b32 s34, s38, 20
	s_mov_b64 s[30:31], 0
	s_movk_i32 s35, 0xfff
	v_mov_b32_e32 v4, v35
	v_mov_b32_e32 v5, v0
	s_branch .LBB15_50
.LBB15_49:                              ;   in Loop: Header=BB15_50 Depth=1
	s_or_b64 exec, exec, s[20:21]
	v_add_u32_e32 v5, s38, v5
	v_cmp_lt_u32_e32 vcc, s35, v5
	v_add_u32_e32 v4, s39, v4
	s_or_b64 s[30:31], vcc, s[30:31]
	v_add_u32_e32 v3, s34, v3
	s_andn2_b64 exec, exec, s[30:31]
	s_cbranch_execz .LBB15_54
.LBB15_50:                              ; =>This Inner Loop Header: Depth=1
	v_cmp_ne_u32_e32 vcc, 0, v5
	v_mov_b32_e32 v7, 0
	s_and_saveexec_b64 s[20:21], vcc
	s_cbranch_execz .LBB15_52
; %bb.51:                               ;   in Loop: Header=BB15_50 Depth=1
	ds_read_b32 v7, v4
.LBB15_52:                              ;   in Loop: Header=BB15_50 Depth=1
	s_or_b64 exec, exec, s[20:21]
	ds_read_b32 v8, v4 offset:4
	s_waitcnt lgkmcnt(1)
	v_cmp_gt_i32_e32 vcc, s19, v7
	s_waitcnt lgkmcnt(0)
	v_cmp_le_i32_e64 s[20:21], s19, v8
	s_and_b64 s[50:51], vcc, s[20:21]
	s_and_saveexec_b64 s[20:21], s[50:51]
	s_cbranch_execz .LBB15_49
; %bb.53:                               ;   in Loop: Header=BB15_50 Depth=1
	v_sub_u32_e32 v9, v8, v7
	v_sub_u32_e32 v8, s19, v7
	v_or_b32_e32 v2, v2, v3
	ds_write_b64 v6, v[8:9]
	ds_write_b32 v6, v2 offset:12
	s_branch .LBB15_49
.LBB15_54:
	s_or_b64 exec, exec, s[30:31]
	s_and_saveexec_b64 s[20:21], s[6:7]
	s_cbranch_execz .LBB15_56
; %bb.55:
	v_mov_b32_e32 v2, 0
	ds_read_b32 v3, v2 offset:4
	s_waitcnt lgkmcnt(0)
	ds_write_b32 v2, v3 offset:8
.LBB15_56:
	s_or_b64 exec, exec, s[20:21]
	v_mov_b32_e32 v2, 0
	s_waitcnt lgkmcnt(0)
	s_barrier
	ds_read_b64 v[28:29], v2
	s_mov_b32 s20, 0
	s_waitcnt lgkmcnt(0)
	v_cmp_eq_u32_e32 vcc, v29, v28
	s_cbranch_vccnz .LBB15_222
; %bb.57:
	s_mov_b64 s[30:31], -1
	v_mov_b32_e32 v2, v0
	v_mov_b32_e32 v3, v32
	s_and_saveexec_b64 s[20:21], s[28:29]
	s_cbranch_execz .LBB15_68
; %bb.58:
	v_add_u32_e32 v3, -1, v36
	v_lshrrev_b32_e32 v2, 1, v3
	v_add_u32_e32 v2, 1, v2
	v_cmp_lt_u32_e32 vcc, 13, v3
	v_mov_b32_e32 v6, 0
	s_and_saveexec_b64 s[30:31], vcc
	s_cbranch_execz .LBB15_62
; %bb.59:
	v_and_b32_e32 v3, -8, v2
	v_add_u32_e32 v4, 0x4480, v32
	s_mov_b32 s49, 0
	s_mov_b64 s[34:35], 0
	v_mov_b32_e32 v5, 0
.LBB15_60:                              ; =>This Inner Loop Header: Depth=1
	v_add_u32_e32 v3, -8, v3
	s_add_i32 s49, s49, 16
	v_cmp_eq_u32_e32 vcc, 0, v3
	ds_write2_b32 v4, v5, v5 offset1:1
	ds_write2_b32 v4, v5, v5 offset0:2 offset1:3
	ds_write2_b32 v4, v5, v5 offset0:4 offset1:5
	;; [unrolled: 1-line block ×7, first 2 shown]
	v_add_u32_e32 v4, 64, v4
	s_or_b64 s[34:35], vcc, s[34:35]
	v_mov_b32_e32 v6, s49
	s_andn2_b64 exec, exec, s[34:35]
	s_cbranch_execnz .LBB15_60
; %bb.61:
	s_or_b64 exec, exec, s[34:35]
.LBB15_62:
	s_or_b64 exec, exec, s[30:31]
	v_and_b32_e32 v2, 7, v2
	v_cmp_ne_u32_e32 vcc, 0, v2
	s_and_saveexec_b64 s[30:31], vcc
	s_cbranch_execz .LBB15_65
; %bb.63:
	v_lshlrev_b32_e32 v3, 2, v6
	s_movk_i32 s34, 0x4480
	v_add3_u32 v3, v3, v32, s34
	s_mov_b64 s[34:35], 0
	v_mov_b32_e32 v4, 0
.LBB15_64:                              ; =>This Inner Loop Header: Depth=1
	v_add_u32_e32 v2, -1, v2
	v_cmp_eq_u32_e32 vcc, 0, v2
	ds_write2_b32 v3, v4, v4 offset1:1
	s_or_b64 s[34:35], vcc, s[34:35]
	v_add_u32_e32 v3, 8, v3
	s_andn2_b64 exec, exec, s[34:35]
	s_cbranch_execnz .LBB15_64
.LBB15_65:
	s_or_b64 exec, exec, s[30:31]
	v_and_b32_e32 v4, -2, v33
	v_cmp_ne_u32_e32 vcc, v33, v4
	s_mov_b64 s[30:31], 0
                                        ; implicit-def: $vgpr2
                                        ; implicit-def: $vgpr3
	s_and_saveexec_b64 s[34:35], vcc
; %bb.66:
	v_add_u32_e32 v2, v0, v4
	s_mov_b64 s[30:31], exec
	v_lshlrev_b32_e32 v3, 2, v2
; %bb.67:
	s_or_b64 exec, exec, s[34:35]
	s_orn2_b64 s[30:31], s[30:31], exec
.LBB15_68:
	s_or_b64 exec, exec, s[20:21]
	s_and_saveexec_b64 s[20:21], s[30:31]
	s_cbranch_execz .LBB15_71
; %bb.69:
	v_add_u32_e32 v3, 0x4480, v3
	s_mov_b64 s[30:31], 0
	v_mov_b32_e32 v4, 0
	s_movk_i32 s34, 0xfff
.LBB15_70:                              ; =>This Inner Loop Header: Depth=1
	v_add_u32_e32 v2, s38, v2
	v_cmp_lt_u32_e32 vcc, s34, v2
	ds_write_b32 v3, v4
	s_or_b64 s[30:31], vcc, s[30:31]
	v_add_u32_e32 v3, s39, v3
	s_andn2_b64 exec, exec, s[30:31]
	s_cbranch_execnz .LBB15_70
.LBB15_71:
	s_or_b64 exec, exec, s[20:21]
	s_and_saveexec_b64 s[20:21], s[6:7]
	s_cbranch_execz .LBB15_73
; %bb.72:
	v_mov_b32_e32 v2, 0
	ds_write_b32 v2, v2 offset:128
.LBB15_73:
	s_or_b64 exec, exec, s[20:21]
	v_mov_b32_e32 v2, 0
	s_waitcnt lgkmcnt(0)
	s_barrier
	ds_read_b32 v29, v2 offset:12
	v_mov_b32_e32 v30, v0
	s_and_saveexec_b64 s[20:21], s[16:17]
	s_cbranch_execz .LBB15_110
; %bb.74:
	s_mov_b64 s[30:31], 0
	v_mov_b32_e32 v43, s43
	v_mov_b32_e32 v44, s47
	v_bfrev_b32_e32 v45, -2
	v_mov_b32_e32 v46, 1
	v_mov_b32_e32 v47, s48
	v_pk_mov_b32 v[10:11], v[22:23], v[22:23] op_sel:[0,1]
	v_pk_mov_b32 v[30:31], v[0:1], v[0:1] op_sel:[0,1]
	s_branch .LBB15_76
.LBB15_75:                              ;   in Loop: Header=BB15_76 Depth=1
	s_or_b64 exec, exec, s[34:35]
	v_add_u32_e32 v30, s39, v30
	v_ashrrev_i32_e32 v31, 31, v30
	v_add_co_u32_e32 v10, vcc, s44, v30
	v_addc_co_u32_e32 v11, vcc, 0, v31, vcc
	v_cmp_le_u64_e32 vcc, s[26:27], v[10:11]
	s_or_b64 s[30:31], vcc, s[30:31]
	s_andn2_b64 exec, exec, s[30:31]
	s_cbranch_execz .LBB15_109
.LBB15_76:                              ; =>This Inner Loop Header: Depth=1
	v_lshlrev_b64 v[12:13], 4, v[30:31]
	v_add_co_u32_e32 v2, vcc, s42, v12
	v_addc_co_u32_e32 v3, vcc, v43, v13, vcc
	global_load_dwordx4 v[2:5], v[2:3], off
	v_add_co_u32_e32 v6, vcc, s45, v12
	v_addc_co_u32_e32 v7, vcc, v44, v13, vcc
	global_load_dwordx4 v[6:9], v[6:7], off
	s_waitcnt vmcnt(1)
	v_cmp_gt_i32_e32 vcc, 0, v2
	v_cndmask_b32_e64 v31, v45, 0, vcc
	v_xor_b32_e32 v2, v31, v2
	v_and_b32_e32 v31, 0xfff00000, v2
	s_waitcnt lgkmcnt(0)
	v_cmp_eq_u32_e32 vcc, v31, v29
	s_and_saveexec_b64 s[34:35], vcc
	s_cbranch_execz .LBB15_78
; %bb.77:                               ;   in Loop: Header=BB15_76 Depth=1
	v_lshrrev_b32_e32 v2, 6, v2
	v_and_b32_e32 v2, 0x3ffc, v2
	ds_add_u32 v2, v46 offset:17536
.LBB15_78:                              ;   in Loop: Header=BB15_76 Depth=1
	s_or_b64 exec, exec, s[34:35]
	v_cmp_gt_i32_e32 vcc, 0, v3
	v_cndmask_b32_e64 v2, v45, 0, vcc
	v_xor_b32_e32 v2, v2, v3
	v_and_b32_e32 v3, 0xfff00000, v2
	v_cmp_eq_u32_e32 vcc, v3, v29
	s_and_saveexec_b64 s[34:35], vcc
	s_cbranch_execz .LBB15_80
; %bb.79:                               ;   in Loop: Header=BB15_76 Depth=1
	v_lshrrev_b32_e32 v2, 6, v2
	v_and_b32_e32 v2, 0x3ffc, v2
	ds_add_u32 v2, v46 offset:17536
.LBB15_80:                              ;   in Loop: Header=BB15_76 Depth=1
	s_or_b64 exec, exec, s[34:35]
	v_cmp_gt_i32_e32 vcc, 0, v4
	v_cndmask_b32_e64 v2, v45, 0, vcc
	v_xor_b32_e32 v2, v2, v4
	v_and_b32_e32 v3, 0xfff00000, v2
	;; [unrolled: 13-line block ×3, first 2 shown]
	v_cmp_eq_u32_e32 vcc, v3, v29
	s_and_saveexec_b64 s[34:35], vcc
	s_cbranch_execz .LBB15_84
; %bb.83:                               ;   in Loop: Header=BB15_76 Depth=1
	v_lshrrev_b32_e32 v2, 6, v2
	v_and_b32_e32 v2, 0x3ffc, v2
	ds_add_u32 v2, v46 offset:17536
.LBB15_84:                              ;   in Loop: Header=BB15_76 Depth=1
	s_or_b64 exec, exec, s[34:35]
	v_add_co_u32_e32 v48, vcc, s46, v12
	v_addc_co_u32_e32 v49, vcc, v47, v13, vcc
	v_lshlrev_b64 v[2:3], 4, v[10:11]
	v_add_co_u32_e32 v50, vcc, s42, v2
	v_addc_co_u32_e32 v51, vcc, v43, v3, vcc
	global_load_dwordx4 v[10:13], v[48:49], off
	global_load_dwordx4 v[2:5], v[50:51], off
	s_waitcnt vmcnt(2)
	v_cmp_gt_i32_e32 vcc, 0, v6
	v_cndmask_b32_e64 v31, v45, 0, vcc
	v_xor_b32_e32 v6, v31, v6
	v_and_b32_e32 v31, 0xfff00000, v6
	v_cmp_eq_u32_e32 vcc, v31, v29
	s_and_saveexec_b64 s[34:35], vcc
	s_cbranch_execz .LBB15_86
; %bb.85:                               ;   in Loop: Header=BB15_76 Depth=1
	v_lshrrev_b32_e32 v6, 6, v6
	v_and_b32_e32 v6, 0x3ffc, v6
	ds_add_u32 v6, v46 offset:17536
.LBB15_86:                              ;   in Loop: Header=BB15_76 Depth=1
	s_or_b64 exec, exec, s[34:35]
	v_cmp_gt_i32_e32 vcc, 0, v7
	v_cndmask_b32_e64 v6, v45, 0, vcc
	v_xor_b32_e32 v6, v6, v7
	v_and_b32_e32 v7, 0xfff00000, v6
	v_cmp_eq_u32_e32 vcc, v7, v29
	s_and_saveexec_b64 s[34:35], vcc
	s_cbranch_execz .LBB15_88
; %bb.87:                               ;   in Loop: Header=BB15_76 Depth=1
	v_lshrrev_b32_e32 v6, 6, v6
	v_and_b32_e32 v6, 0x3ffc, v6
	ds_add_u32 v6, v46 offset:17536
.LBB15_88:                              ;   in Loop: Header=BB15_76 Depth=1
	s_or_b64 exec, exec, s[34:35]
	;; [unrolled: 13-line block ×4, first 2 shown]
	s_waitcnt vmcnt(1)
	v_cmp_gt_i32_e32 vcc, 0, v10
	v_cndmask_b32_e64 v6, v45, 0, vcc
	v_xor_b32_e32 v6, v6, v10
	v_and_b32_e32 v7, 0xfff00000, v6
	v_cmp_eq_u32_e32 vcc, v7, v29
	s_and_saveexec_b64 s[34:35], vcc
	s_cbranch_execz .LBB15_94
; %bb.93:                               ;   in Loop: Header=BB15_76 Depth=1
	v_lshrrev_b32_e32 v6, 6, v6
	v_and_b32_e32 v6, 0x3ffc, v6
	ds_add_u32 v6, v46 offset:17536
.LBB15_94:                              ;   in Loop: Header=BB15_76 Depth=1
	s_or_b64 exec, exec, s[34:35]
	v_cmp_gt_i32_e32 vcc, 0, v11
	v_cndmask_b32_e64 v6, v45, 0, vcc
	v_xor_b32_e32 v6, v6, v11
	v_and_b32_e32 v7, 0xfff00000, v6
	v_cmp_eq_u32_e32 vcc, v7, v29
	s_and_saveexec_b64 s[34:35], vcc
	s_cbranch_execz .LBB15_96
; %bb.95:                               ;   in Loop: Header=BB15_76 Depth=1
	v_lshrrev_b32_e32 v6, 6, v6
	v_and_b32_e32 v6, 0x3ffc, v6
	ds_add_u32 v6, v46 offset:17536
.LBB15_96:                              ;   in Loop: Header=BB15_76 Depth=1
	s_or_b64 exec, exec, s[34:35]
	;; [unrolled: 13-line block ×3, first 2 shown]
	v_cmp_gt_i32_e32 vcc, 0, v13
	v_cndmask_b32_e64 v6, v45, 0, vcc
	v_xor_b32_e32 v6, v6, v13
	v_and_b32_e32 v7, 0xfff00000, v6
	v_cmp_eq_u32_e32 vcc, v7, v29
	s_and_saveexec_b64 s[34:35], vcc
	s_cbranch_execz .LBB15_100
; %bb.99:                               ;   in Loop: Header=BB15_76 Depth=1
	v_lshrrev_b32_e32 v6, 6, v6
	v_and_b32_e32 v6, 0x3ffc, v6
	ds_add_u32 v6, v46 offset:17536
.LBB15_100:                             ;   in Loop: Header=BB15_76 Depth=1
	s_or_b64 exec, exec, s[34:35]
	s_waitcnt vmcnt(0)
	v_cmp_gt_i32_e32 vcc, 0, v2
	v_cndmask_b32_e64 v6, v45, 0, vcc
	v_xor_b32_e32 v2, v6, v2
	v_and_b32_e32 v6, 0xfff00000, v2
	v_cmp_eq_u32_e32 vcc, v6, v29
	s_and_saveexec_b64 s[34:35], vcc
	s_cbranch_execz .LBB15_102
; %bb.101:                              ;   in Loop: Header=BB15_76 Depth=1
	v_lshrrev_b32_e32 v2, 6, v2
	v_and_b32_e32 v2, 0x3ffc, v2
	ds_add_u32 v2, v46 offset:17536
.LBB15_102:                             ;   in Loop: Header=BB15_76 Depth=1
	s_or_b64 exec, exec, s[34:35]
	v_cmp_gt_i32_e32 vcc, 0, v3
	v_cndmask_b32_e64 v2, v45, 0, vcc
	v_xor_b32_e32 v2, v2, v3
	v_and_b32_e32 v3, 0xfff00000, v2
	v_cmp_eq_u32_e32 vcc, v3, v29
	s_and_saveexec_b64 s[34:35], vcc
	s_cbranch_execz .LBB15_104
; %bb.103:                              ;   in Loop: Header=BB15_76 Depth=1
	v_lshrrev_b32_e32 v2, 6, v2
	v_and_b32_e32 v2, 0x3ffc, v2
	ds_add_u32 v2, v46 offset:17536
.LBB15_104:                             ;   in Loop: Header=BB15_76 Depth=1
	s_or_b64 exec, exec, s[34:35]
	;; [unrolled: 13-line block ×3, first 2 shown]
	v_cmp_gt_i32_e32 vcc, 0, v5
	v_cndmask_b32_e64 v2, v45, 0, vcc
	v_xor_b32_e32 v2, v2, v5
	v_and_b32_e32 v3, 0xfff00000, v2
	v_cmp_eq_u32_e32 vcc, v3, v29
	s_and_saveexec_b64 s[34:35], vcc
	s_cbranch_execz .LBB15_75
; %bb.107:                              ;   in Loop: Header=BB15_76 Depth=1
	v_lshrrev_b32_e32 v2, 6, v2
	v_and_b32_e32 v2, 0x3ffc, v2
	ds_add_u32 v2, v46 offset:17536
	s_branch .LBB15_75
.LBB15_108:
                                        ; implicit-def: $sgpr6_sgpr7
	s_branch .LBB15_2
.LBB15_109:
	s_or_b64 exec, exec, s[30:31]
.LBB15_110:
	s_or_b64 exec, exec, s[20:21]
	v_cmp_gt_i32_e32 vcc, s26, v30
	s_and_saveexec_b64 s[20:21], vcc
	s_cbranch_execz .LBB15_121
; %bb.111:
	s_mov_b64 s[30:31], 0
	v_mov_b32_e32 v6, s43
	v_bfrev_b32_e32 v7, -2
	v_mov_b32_e32 v8, 1
	s_branch .LBB15_113
.LBB15_112:                             ;   in Loop: Header=BB15_113 Depth=1
	s_or_b64 exec, exec, s[34:35]
	v_add_u32_e32 v30, s38, v30
	v_cmp_le_i32_e32 vcc, s26, v30
	s_or_b64 s[30:31], vcc, s[30:31]
	s_andn2_b64 exec, exec, s[30:31]
	s_cbranch_execz .LBB15_121
.LBB15_113:                             ; =>This Inner Loop Header: Depth=1
	v_ashrrev_i32_e32 v31, 31, v30
	v_lshlrev_b64 v[2:3], 4, v[30:31]
	v_add_co_u32_e32 v2, vcc, s42, v2
	v_addc_co_u32_e32 v3, vcc, v6, v3, vcc
	global_load_dwordx4 v[2:5], v[2:3], off
	s_waitcnt vmcnt(0)
	v_cmp_gt_i32_e32 vcc, 0, v2
	v_cndmask_b32_e64 v9, v7, 0, vcc
	v_xor_b32_e32 v2, v9, v2
	v_and_b32_e32 v9, 0xfff00000, v2
	s_waitcnt lgkmcnt(0)
	v_cmp_eq_u32_e32 vcc, v9, v29
	s_and_saveexec_b64 s[34:35], vcc
	s_cbranch_execz .LBB15_115
; %bb.114:                              ;   in Loop: Header=BB15_113 Depth=1
	v_lshrrev_b32_e32 v2, 6, v2
	v_and_b32_e32 v2, 0x3ffc, v2
	ds_add_u32 v2, v8 offset:17536
.LBB15_115:                             ;   in Loop: Header=BB15_113 Depth=1
	s_or_b64 exec, exec, s[34:35]
	v_cmp_gt_i32_e32 vcc, 0, v3
	v_cndmask_b32_e64 v2, v7, 0, vcc
	v_xor_b32_e32 v2, v2, v3
	v_and_b32_e32 v3, 0xfff00000, v2
	v_cmp_eq_u32_e32 vcc, v3, v29
	s_and_saveexec_b64 s[34:35], vcc
	s_cbranch_execz .LBB15_117
; %bb.116:                              ;   in Loop: Header=BB15_113 Depth=1
	v_lshrrev_b32_e32 v2, 6, v2
	v_and_b32_e32 v2, 0x3ffc, v2
	ds_add_u32 v2, v8 offset:17536
.LBB15_117:                             ;   in Loop: Header=BB15_113 Depth=1
	s_or_b64 exec, exec, s[34:35]
	v_cmp_gt_i32_e32 vcc, 0, v4
	v_cndmask_b32_e64 v2, v7, 0, vcc
	v_xor_b32_e32 v2, v2, v4
	v_and_b32_e32 v3, 0xfff00000, v2
	;; [unrolled: 13-line block ×3, first 2 shown]
	v_cmp_eq_u32_e32 vcc, v3, v29
	s_and_saveexec_b64 s[34:35], vcc
	s_cbranch_execz .LBB15_112
; %bb.120:                              ;   in Loop: Header=BB15_113 Depth=1
	v_lshrrev_b32_e32 v2, 6, v2
	v_and_b32_e32 v2, 0x3ffc, v2
	ds_add_u32 v2, v8 offset:17536
	s_branch .LBB15_112
.LBB15_121:
	s_or_b64 exec, exec, s[20:21]
	s_and_saveexec_b64 s[20:21], s[10:11]
	s_cbranch_execz .LBB15_124
; %bb.122:
	global_load_dword v2, v[24:25], off
	v_bfrev_b32_e32 v3, -2
	s_waitcnt vmcnt(0)
	v_cmp_gt_i32_e32 vcc, 0, v2
	v_cndmask_b32_e64 v3, v3, 0, vcc
	v_xor_b32_e32 v2, v3, v2
	v_and_b32_e32 v3, 0xfff00000, v2
	s_waitcnt lgkmcnt(0)
	v_cmp_eq_u32_e32 vcc, v3, v29
	s_and_b64 exec, exec, vcc
	s_cbranch_execz .LBB15_124
; %bb.123:
	v_lshrrev_b32_e32 v2, 6, v2
	v_and_b32_e32 v2, 0x3ffc, v2
	v_mov_b32_e32 v3, 1
	ds_add_u32 v2, v3 offset:17536
.LBB15_124:
	s_or_b64 exec, exec, s[20:21]
	s_and_saveexec_b64 s[20:21], s[12:13]
	s_cbranch_execz .LBB15_127
; %bb.125:
	global_load_dword v2, v[26:27], off
	v_bfrev_b32_e32 v3, -2
	s_waitcnt vmcnt(0)
	v_cmp_gt_i32_e32 vcc, 0, v2
	v_cndmask_b32_e64 v3, v3, 0, vcc
	v_xor_b32_e32 v2, v3, v2
	v_and_b32_e32 v3, 0xfff00000, v2
	s_waitcnt lgkmcnt(0)
	v_cmp_eq_u32_e32 vcc, v3, v29
	s_and_b64 exec, exec, vcc
	s_cbranch_execz .LBB15_127
; %bb.126:
	v_lshrrev_b32_e32 v2, 6, v2
	v_and_b32_e32 v2, 0x3ffc, v2
	v_mov_b32_e32 v3, 1
	ds_add_u32 v2, v3 offset:17536
.LBB15_127:
	s_or_b64 exec, exec, s[20:21]
	s_waitcnt lgkmcnt(0)
	s_barrier
	flat_load_dword v2, v[14:15] glc
	s_waitcnt vmcnt(0)
	flat_load_dword v3, v[16:17] glc
	s_waitcnt vmcnt(0)
	;; [unrolled: 2-line block ×3, first 2 shown]
	flat_load_dword v5, v[20:21] glc
	s_waitcnt vmcnt(0) lgkmcnt(0)
	ds_write_b32 v37, v2
	ds_write_b32 v38, v3 offset:4096
	ds_write_b32 v39, v4 offset:8192
	;; [unrolled: 1-line block ×3, first 2 shown]
	s_waitcnt lgkmcnt(0)
	s_barrier
	ds_read2_b32 v[4:5], v41 offset1:1
	ds_read2_b32 v[2:3], v41 offset0:2 offset1:3
	s_waitcnt lgkmcnt(0)
	s_barrier
	v_add_u32_e32 v6, v5, v4
	v_add3_u32 v6, v6, v2, v3
	ds_write_b32 v37, v6
	s_waitcnt lgkmcnt(0)
	s_barrier
	s_and_saveexec_b64 s[20:21], s[14:15]
	s_cbranch_execz .LBB15_129
; %bb.128:
	ds_read2_b32 v[8:9], v34 offset1:1
	ds_read2_b32 v[10:11], v34 offset0:2 offset1:3
	ds_read2_b32 v[12:13], v34 offset0:4 offset1:5
	;; [unrolled: 1-line block ×7, first 2 shown]
	s_waitcnt lgkmcnt(7)
	v_add_u32_e32 v7, v9, v8
	s_waitcnt lgkmcnt(6)
	v_add3_u32 v7, v7, v10, v11
	s_waitcnt lgkmcnt(5)
	v_add3_u32 v7, v7, v12, v13
	;; [unrolled: 2-line block ×5, first 2 shown]
	v_mbcnt_lo_u32_b32 v29, -1, 0
	s_waitcnt lgkmcnt(1)
	v_add3_u32 v7, v7, v48, v49
	v_mbcnt_hi_u32_b32 v29, -1, v29
	s_waitcnt lgkmcnt(0)
	v_add3_u32 v7, v7, v50, v51
	v_and_b32_e32 v43, 15, v29
	v_cmp_ne_u32_e32 vcc, 0, v43
	v_mov_b32_dpp v52, v7 row_shr:1 row_mask:0xf bank_mask:0xf
	v_cndmask_b32_e32 v52, 0, v52, vcc
	v_add_u32_e32 v7, v52, v7
	v_cmp_lt_u32_e32 vcc, 1, v43
	s_nop 0
	v_mov_b32_dpp v52, v7 row_shr:2 row_mask:0xf bank_mask:0xf
	v_cndmask_b32_e32 v52, 0, v52, vcc
	v_add_u32_e32 v7, v7, v52
	v_cmp_lt_u32_e32 vcc, 3, v43
	s_nop 0
	;; [unrolled: 5-line block ×3, first 2 shown]
	v_mov_b32_dpp v52, v7 row_shr:8 row_mask:0xf bank_mask:0xf
	v_cndmask_b32_e32 v43, 0, v52, vcc
	v_add_u32_e32 v7, v7, v43
	v_bfe_i32 v52, v29, 4, 1
	v_cmp_lt_u32_e32 vcc, 31, v29
	v_mov_b32_dpp v43, v7 row_bcast:15 row_mask:0xf bank_mask:0xf
	v_and_b32_e32 v43, v52, v43
	v_add_u32_e32 v7, v7, v43
	v_and_b32_e32 v52, 64, v29
	s_nop 0
	v_mov_b32_dpp v43, v7 row_bcast:31 row_mask:0xf bank_mask:0xf
	v_cndmask_b32_e32 v43, 0, v43, vcc
	v_add_u32_e32 v7, v7, v43
	v_add_u32_e32 v43, -1, v29
	v_cmp_lt_i32_e32 vcc, v43, v52
	v_cndmask_b32_e32 v29, v43, v29, vcc
	v_lshlrev_b32_e32 v29, 2, v29
	ds_bpermute_b32 v7, v29, v7
	s_waitcnt lgkmcnt(0)
	v_add_u32_e32 v7, v7, v8
	v_cndmask_b32_e64 v6, v7, v6, s[6:7]
	v_add_u32_e32 v7, v6, v9
	ds_write2_b32 v34, v6, v7 offset1:1
	v_add_u32_e32 v6, v7, v10
	v_add_u32_e32 v7, v6, v11
	ds_write2_b32 v34, v6, v7 offset0:2 offset1:3
	v_add_u32_e32 v6, v7, v12
	v_add_u32_e32 v7, v6, v13
	ds_write2_b32 v34, v6, v7 offset0:4 offset1:5
	;; [unrolled: 3-line block ×7, first 2 shown]
.LBB15_129:
	s_or_b64 exec, exec, s[20:21]
	v_mov_b32_e32 v6, 0
	v_mov_b32_e32 v7, 0
	s_waitcnt lgkmcnt(0)
	s_barrier
	s_and_saveexec_b64 s[20:21], s[8:9]
	s_cbranch_execz .LBB15_131
; %bb.130:
	ds_read_b32 v7, v42
.LBB15_131:
	s_or_b64 exec, exec, s[20:21]
	s_waitcnt lgkmcnt(0)
	v_add_u32_e32 v4, v7, v4
	v_add_u32_e32 v5, v4, v5
	;; [unrolled: 1-line block ×4, first 2 shown]
	s_barrier
	ds_write2_b32 v41, v4, v5 offset1:1
	ds_write2_b32 v41, v2, v3 offset0:2 offset1:3
	s_waitcnt lgkmcnt(0)
	s_barrier
	ds_read_b32 v2, v37
	ds_read_b32 v3, v38 offset:4096
	ds_read_b32 v4, v39 offset:8192
	;; [unrolled: 1-line block ×3, first 2 shown]
	s_waitcnt lgkmcnt(3)
	flat_store_dword v[14:15], v2
	s_waitcnt vmcnt(0) lgkmcnt(0)
	flat_store_dword v[16:17], v3
	s_waitcnt vmcnt(0)
	flat_store_dword v[18:19], v4
	s_waitcnt vmcnt(0)
	flat_store_dword v[20:21], v5
	s_waitcnt vmcnt(0) lgkmcnt(0)
	s_barrier
	ds_read_b32 v2, v6 offset:12
	v_lshlrev_b32_e32 v3, 8, v0
	s_lshl_b32 s34, s38, 8
	s_mov_b64 s[30:31], 0
	s_movk_i32 s35, 0xfff
	v_mov_b32_e32 v4, v35
	v_mov_b32_e32 v5, v0
	s_branch .LBB15_133
.LBB15_132:                             ;   in Loop: Header=BB15_133 Depth=1
	s_or_b64 exec, exec, s[20:21]
	v_add_u32_e32 v5, s38, v5
	v_cmp_lt_u32_e32 vcc, s35, v5
	v_add_u32_e32 v3, s34, v3
	s_or_b64 s[30:31], vcc, s[30:31]
	v_add_u32_e32 v4, s39, v4
	s_andn2_b64 exec, exec, s[30:31]
	s_cbranch_execz .LBB15_137
.LBB15_133:                             ; =>This Inner Loop Header: Depth=1
	v_cmp_ne_u32_e32 vcc, 0, v5
	v_mov_b32_e32 v7, 0
	s_and_saveexec_b64 s[20:21], vcc
	s_cbranch_execz .LBB15_135
; %bb.134:                              ;   in Loop: Header=BB15_133 Depth=1
	ds_read_b32 v7, v4
.LBB15_135:                             ;   in Loop: Header=BB15_133 Depth=1
	s_or_b64 exec, exec, s[20:21]
	ds_read_b32 v8, v4 offset:4
	s_waitcnt lgkmcnt(1)
	v_cmp_lt_i32_e32 vcc, v7, v28
	s_waitcnt lgkmcnt(0)
	v_cmp_ge_i32_e64 s[20:21], v8, v28
	s_and_b64 s[50:51], vcc, s[20:21]
	s_and_saveexec_b64 s[20:21], s[50:51]
	s_cbranch_execz .LBB15_132
; %bb.136:                              ;   in Loop: Header=BB15_133 Depth=1
	v_sub_u32_e32 v9, v8, v7
	v_sub_u32_e32 v8, v28, v7
	v_or_b32_e32 v2, v2, v3
	ds_write_b64 v6, v[8:9]
	ds_write_b32 v6, v2 offset:12
	s_branch .LBB15_132
.LBB15_137:
	s_or_b64 exec, exec, s[30:31]
	s_and_saveexec_b64 s[20:21], s[6:7]
	s_cbranch_execz .LBB15_139
; %bb.138:
	v_mov_b32_e32 v2, 0
	ds_read_b32 v3, v2 offset:4
	s_waitcnt lgkmcnt(0)
	ds_write_b32 v2, v3 offset:8
.LBB15_139:
	s_or_b64 exec, exec, s[20:21]
	v_mov_b32_e32 v2, 0
	s_waitcnt lgkmcnt(0)
	s_barrier
	ds_read_b64 v[28:29], v2
	s_mov_b32 s20, 1
	s_waitcnt lgkmcnt(0)
	v_cmp_eq_u32_e32 vcc, v29, v28
	s_cbranch_vccnz .LBB15_222
; %bb.140:
	s_mov_b64 s[30:31], -1
	v_mov_b32_e32 v2, v0
	s_and_saveexec_b64 s[20:21], s[28:29]
	s_cbranch_execz .LBB15_151
; %bb.141:
	v_add_u32_e32 v3, -1, v36
	v_lshrrev_b32_e32 v2, 1, v3
	v_add_u32_e32 v2, 1, v2
	v_cmp_lt_u32_e32 vcc, 13, v3
	v_mov_b32_e32 v6, 0
	s_and_saveexec_b64 s[28:29], vcc
	s_cbranch_execz .LBB15_145
; %bb.142:
	v_and_b32_e32 v3, -8, v2
	v_add_u32_e32 v4, 0x4480, v32
	s_mov_b32 s34, 0
	s_mov_b64 s[30:31], 0
	v_mov_b32_e32 v5, 0
.LBB15_143:                             ; =>This Inner Loop Header: Depth=1
	v_add_u32_e32 v3, -8, v3
	s_add_i32 s34, s34, 16
	v_cmp_eq_u32_e32 vcc, 0, v3
	ds_write2_b32 v4, v5, v5 offset1:1
	ds_write2_b32 v4, v5, v5 offset0:2 offset1:3
	ds_write2_b32 v4, v5, v5 offset0:4 offset1:5
	;; [unrolled: 1-line block ×7, first 2 shown]
	v_add_u32_e32 v4, 64, v4
	s_or_b64 s[30:31], vcc, s[30:31]
	v_mov_b32_e32 v6, s34
	s_andn2_b64 exec, exec, s[30:31]
	s_cbranch_execnz .LBB15_143
; %bb.144:
	s_or_b64 exec, exec, s[30:31]
.LBB15_145:
	s_or_b64 exec, exec, s[28:29]
	v_and_b32_e32 v2, 7, v2
	v_cmp_ne_u32_e32 vcc, 0, v2
	s_and_saveexec_b64 s[28:29], vcc
	s_cbranch_execz .LBB15_148
; %bb.146:
	v_lshlrev_b32_e32 v3, 2, v6
	s_movk_i32 s30, 0x4480
	v_add3_u32 v3, v3, v32, s30
	s_mov_b64 s[30:31], 0
	v_mov_b32_e32 v4, 0
.LBB15_147:                             ; =>This Inner Loop Header: Depth=1
	v_add_u32_e32 v2, -1, v2
	v_cmp_eq_u32_e32 vcc, 0, v2
	ds_write2_b32 v3, v4, v4 offset1:1
	s_or_b64 s[30:31], vcc, s[30:31]
	v_add_u32_e32 v3, 8, v3
	s_andn2_b64 exec, exec, s[30:31]
	s_cbranch_execnz .LBB15_147
.LBB15_148:
	s_or_b64 exec, exec, s[28:29]
	v_and_b32_e32 v3, -2, v33
	v_cmp_ne_u32_e32 vcc, v33, v3
	s_mov_b64 s[28:29], 0
                                        ; implicit-def: $vgpr2
                                        ; implicit-def: $vgpr32
	s_and_saveexec_b64 s[30:31], vcc
; %bb.149:
	v_add_u32_e32 v2, v0, v3
	s_mov_b64 s[28:29], exec
	v_lshlrev_b32_e32 v32, 2, v2
; %bb.150:
	s_or_b64 exec, exec, s[30:31]
	s_orn2_b64 s[30:31], s[28:29], exec
.LBB15_151:
	s_or_b64 exec, exec, s[20:21]
	s_and_saveexec_b64 s[20:21], s[30:31]
	s_cbranch_execz .LBB15_154
; %bb.152:
	v_add_u32_e32 v3, 0x4480, v32
	s_mov_b64 s[28:29], 0
	v_mov_b32_e32 v4, 0
	s_movk_i32 s30, 0xfff
.LBB15_153:                             ; =>This Inner Loop Header: Depth=1
	v_add_u32_e32 v2, s38, v2
	v_cmp_lt_u32_e32 vcc, s30, v2
	ds_write_b32 v3, v4
	s_or_b64 s[28:29], vcc, s[28:29]
	v_add_u32_e32 v3, s39, v3
	s_andn2_b64 exec, exec, s[28:29]
	s_cbranch_execnz .LBB15_153
.LBB15_154:
	s_or_b64 exec, exec, s[20:21]
	s_and_saveexec_b64 s[20:21], s[6:7]
	s_cbranch_execz .LBB15_156
; %bb.155:
	v_mov_b32_e32 v2, 0
	ds_write_b32 v2, v2 offset:128
.LBB15_156:
	s_or_b64 exec, exec, s[20:21]
	v_mov_b32_e32 v2, 0
	s_waitcnt lgkmcnt(0)
	s_barrier
	ds_read_b32 v29, v2 offset:12
	v_mov_b32_e32 v30, v0
	s_and_saveexec_b64 s[20:21], s[16:17]
	s_cbranch_execz .LBB15_192
; %bb.157:
	s_mov_b64 s[16:17], 0
	v_mov_b32_e32 v32, s43
	v_mov_b32_e32 v33, s47
	v_bfrev_b32_e32 v36, -2
	v_mov_b32_e32 v43, 1
	v_mov_b32_e32 v44, s48
	v_pk_mov_b32 v[30:31], v[0:1], v[0:1] op_sel:[0,1]
	s_branch .LBB15_159
.LBB15_158:                             ;   in Loop: Header=BB15_159 Depth=1
	s_or_b64 exec, exec, s[28:29]
	v_add_u32_e32 v30, s39, v30
	v_ashrrev_i32_e32 v31, 31, v30
	v_add_co_u32_e32 v22, vcc, s44, v30
	v_addc_co_u32_e32 v23, vcc, 0, v31, vcc
	v_cmp_le_u64_e32 vcc, s[26:27], v[22:23]
	s_or_b64 s[16:17], vcc, s[16:17]
	s_andn2_b64 exec, exec, s[16:17]
	s_cbranch_execz .LBB15_191
.LBB15_159:                             ; =>This Inner Loop Header: Depth=1
	v_lshlrev_b64 v[10:11], 4, v[30:31]
	v_add_co_u32_e32 v2, vcc, s42, v10
	v_addc_co_u32_e32 v3, vcc, v32, v11, vcc
	global_load_dwordx4 v[2:5], v[2:3], off
	v_add_co_u32_e32 v6, vcc, s45, v10
	v_addc_co_u32_e32 v7, vcc, v33, v11, vcc
	global_load_dwordx4 v[6:9], v[6:7], off
	s_waitcnt vmcnt(1)
	v_cmp_gt_i32_e32 vcc, 0, v2
	v_cndmask_b32_e64 v1, v36, 0, vcc
	v_xor_b32_e32 v1, v1, v2
	v_and_b32_e32 v2, 0xffffff00, v1
	s_waitcnt lgkmcnt(0)
	v_cmp_eq_u32_e32 vcc, v2, v29
	s_and_saveexec_b64 s[28:29], vcc
	s_cbranch_execz .LBB15_161
; %bb.160:                              ;   in Loop: Header=BB15_159 Depth=1
	v_and_b32_e32 v1, 0xfff, v1
	v_lshlrev_b32_e32 v1, 2, v1
	ds_add_u32 v1, v43 offset:17536
.LBB15_161:                             ;   in Loop: Header=BB15_159 Depth=1
	s_or_b64 exec, exec, s[28:29]
	v_cmp_gt_i32_e32 vcc, 0, v3
	v_cndmask_b32_e64 v1, v36, 0, vcc
	v_xor_b32_e32 v1, v1, v3
	v_and_b32_e32 v2, 0xffffff00, v1
	v_cmp_eq_u32_e32 vcc, v2, v29
	s_and_saveexec_b64 s[28:29], vcc
	s_cbranch_execz .LBB15_163
; %bb.162:                              ;   in Loop: Header=BB15_159 Depth=1
	v_and_b32_e32 v1, 0xfff, v1
	v_lshlrev_b32_e32 v1, 2, v1
	ds_add_u32 v1, v43 offset:17536
.LBB15_163:                             ;   in Loop: Header=BB15_159 Depth=1
	s_or_b64 exec, exec, s[28:29]
	v_cmp_gt_i32_e32 vcc, 0, v4
	v_cndmask_b32_e64 v1, v36, 0, vcc
	v_xor_b32_e32 v1, v1, v4
	v_and_b32_e32 v2, 0xffffff00, v1
	;; [unrolled: 13-line block ×3, first 2 shown]
	v_cmp_eq_u32_e32 vcc, v2, v29
	s_and_saveexec_b64 s[28:29], vcc
	s_cbranch_execz .LBB15_167
; %bb.166:                              ;   in Loop: Header=BB15_159 Depth=1
	v_and_b32_e32 v1, 0xfff, v1
	v_lshlrev_b32_e32 v1, 2, v1
	ds_add_u32 v1, v43 offset:17536
.LBB15_167:                             ;   in Loop: Header=BB15_159 Depth=1
	s_or_b64 exec, exec, s[28:29]
	v_add_co_u32_e32 v46, vcc, s46, v10
	v_addc_co_u32_e32 v47, vcc, v44, v11, vcc
	v_lshlrev_b64 v[2:3], 4, v[22:23]
	v_add_co_u32_e32 v22, vcc, s42, v2
	v_addc_co_u32_e32 v23, vcc, v32, v3, vcc
	global_load_dwordx4 v[10:13], v[46:47], off
	global_load_dwordx4 v[2:5], v[22:23], off
	s_waitcnt vmcnt(2)
	v_cmp_gt_i32_e32 vcc, 0, v6
	v_cndmask_b32_e64 v1, v36, 0, vcc
	v_xor_b32_e32 v1, v1, v6
	v_and_b32_e32 v6, 0xffffff00, v1
	v_cmp_eq_u32_e32 vcc, v6, v29
	s_and_saveexec_b64 s[28:29], vcc
	s_cbranch_execz .LBB15_169
; %bb.168:                              ;   in Loop: Header=BB15_159 Depth=1
	v_and_b32_e32 v1, 0xfff, v1
	v_lshlrev_b32_e32 v1, 2, v1
	ds_add_u32 v1, v43 offset:17536
.LBB15_169:                             ;   in Loop: Header=BB15_159 Depth=1
	s_or_b64 exec, exec, s[28:29]
	v_cmp_gt_i32_e32 vcc, 0, v7
	v_cndmask_b32_e64 v1, v36, 0, vcc
	v_xor_b32_e32 v1, v1, v7
	v_and_b32_e32 v6, 0xffffff00, v1
	v_cmp_eq_u32_e32 vcc, v6, v29
	s_and_saveexec_b64 s[28:29], vcc
	s_cbranch_execz .LBB15_171
; %bb.170:                              ;   in Loop: Header=BB15_159 Depth=1
	v_and_b32_e32 v1, 0xfff, v1
	v_lshlrev_b32_e32 v1, 2, v1
	ds_add_u32 v1, v43 offset:17536
.LBB15_171:                             ;   in Loop: Header=BB15_159 Depth=1
	s_or_b64 exec, exec, s[28:29]
	;; [unrolled: 13-line block ×4, first 2 shown]
	s_waitcnt vmcnt(1)
	v_cmp_gt_i32_e32 vcc, 0, v10
	v_cndmask_b32_e64 v1, v36, 0, vcc
	v_xor_b32_e32 v1, v1, v10
	v_and_b32_e32 v6, 0xffffff00, v1
	v_cmp_eq_u32_e32 vcc, v6, v29
	s_and_saveexec_b64 s[28:29], vcc
	s_cbranch_execz .LBB15_177
; %bb.176:                              ;   in Loop: Header=BB15_159 Depth=1
	v_and_b32_e32 v1, 0xfff, v1
	v_lshlrev_b32_e32 v1, 2, v1
	ds_add_u32 v1, v43 offset:17536
.LBB15_177:                             ;   in Loop: Header=BB15_159 Depth=1
	s_or_b64 exec, exec, s[28:29]
	v_cmp_gt_i32_e32 vcc, 0, v11
	v_cndmask_b32_e64 v1, v36, 0, vcc
	v_xor_b32_e32 v1, v1, v11
	v_and_b32_e32 v6, 0xffffff00, v1
	v_cmp_eq_u32_e32 vcc, v6, v29
	s_and_saveexec_b64 s[28:29], vcc
	s_cbranch_execz .LBB15_179
; %bb.178:                              ;   in Loop: Header=BB15_159 Depth=1
	v_and_b32_e32 v1, 0xfff, v1
	v_lshlrev_b32_e32 v1, 2, v1
	ds_add_u32 v1, v43 offset:17536
.LBB15_179:                             ;   in Loop: Header=BB15_159 Depth=1
	s_or_b64 exec, exec, s[28:29]
	;; [unrolled: 13-line block ×4, first 2 shown]
	s_waitcnt vmcnt(0)
	v_cmp_gt_i32_e32 vcc, 0, v2
	v_cndmask_b32_e64 v1, v36, 0, vcc
	v_xor_b32_e32 v1, v1, v2
	v_and_b32_e32 v2, 0xffffff00, v1
	v_cmp_eq_u32_e32 vcc, v2, v29
	s_and_saveexec_b64 s[28:29], vcc
	s_cbranch_execz .LBB15_185
; %bb.184:                              ;   in Loop: Header=BB15_159 Depth=1
	v_and_b32_e32 v1, 0xfff, v1
	v_lshlrev_b32_e32 v1, 2, v1
	ds_add_u32 v1, v43 offset:17536
.LBB15_185:                             ;   in Loop: Header=BB15_159 Depth=1
	s_or_b64 exec, exec, s[28:29]
	v_cmp_gt_i32_e32 vcc, 0, v3
	v_cndmask_b32_e64 v1, v36, 0, vcc
	v_xor_b32_e32 v1, v1, v3
	v_and_b32_e32 v2, 0xffffff00, v1
	v_cmp_eq_u32_e32 vcc, v2, v29
	s_and_saveexec_b64 s[28:29], vcc
	s_cbranch_execz .LBB15_187
; %bb.186:                              ;   in Loop: Header=BB15_159 Depth=1
	v_and_b32_e32 v1, 0xfff, v1
	v_lshlrev_b32_e32 v1, 2, v1
	ds_add_u32 v1, v43 offset:17536
.LBB15_187:                             ;   in Loop: Header=BB15_159 Depth=1
	s_or_b64 exec, exec, s[28:29]
	;; [unrolled: 13-line block ×3, first 2 shown]
	v_cmp_gt_i32_e32 vcc, 0, v5
	v_cndmask_b32_e64 v1, v36, 0, vcc
	v_xor_b32_e32 v1, v1, v5
	v_and_b32_e32 v2, 0xffffff00, v1
	v_cmp_eq_u32_e32 vcc, v2, v29
	s_and_saveexec_b64 s[28:29], vcc
	s_cbranch_execz .LBB15_158
; %bb.190:                              ;   in Loop: Header=BB15_159 Depth=1
	v_and_b32_e32 v1, 0xfff, v1
	v_lshlrev_b32_e32 v1, 2, v1
	ds_add_u32 v1, v43 offset:17536
	s_branch .LBB15_158
.LBB15_191:
	s_or_b64 exec, exec, s[16:17]
.LBB15_192:
	s_or_b64 exec, exec, s[20:21]
	v_cmp_gt_i32_e32 vcc, s26, v30
	s_and_saveexec_b64 s[16:17], vcc
	s_cbranch_execz .LBB15_203
; %bb.193:
	s_mov_b64 s[20:21], 0
	v_mov_b32_e32 v1, s43
	v_bfrev_b32_e32 v6, -2
	v_mov_b32_e32 v7, 1
	s_branch .LBB15_195
.LBB15_194:                             ;   in Loop: Header=BB15_195 Depth=1
	s_or_b64 exec, exec, s[28:29]
	v_add_u32_e32 v30, s38, v30
	v_cmp_le_i32_e32 vcc, s26, v30
	s_or_b64 s[20:21], vcc, s[20:21]
	s_andn2_b64 exec, exec, s[20:21]
	s_cbranch_execz .LBB15_203
.LBB15_195:                             ; =>This Inner Loop Header: Depth=1
	v_ashrrev_i32_e32 v31, 31, v30
	v_lshlrev_b64 v[2:3], 4, v[30:31]
	v_add_co_u32_e32 v2, vcc, s42, v2
	v_addc_co_u32_e32 v3, vcc, v1, v3, vcc
	global_load_dwordx4 v[2:5], v[2:3], off
	s_waitcnt vmcnt(0)
	v_cmp_gt_i32_e32 vcc, 0, v2
	v_cndmask_b32_e64 v8, v6, 0, vcc
	v_xor_b32_e32 v2, v8, v2
	v_and_b32_e32 v8, 0xffffff00, v2
	s_waitcnt lgkmcnt(0)
	v_cmp_eq_u32_e32 vcc, v8, v29
	s_and_saveexec_b64 s[28:29], vcc
	s_cbranch_execz .LBB15_197
; %bb.196:                              ;   in Loop: Header=BB15_195 Depth=1
	v_and_b32_e32 v2, 0xfff, v2
	v_lshlrev_b32_e32 v2, 2, v2
	ds_add_u32 v2, v7 offset:17536
.LBB15_197:                             ;   in Loop: Header=BB15_195 Depth=1
	s_or_b64 exec, exec, s[28:29]
	v_cmp_gt_i32_e32 vcc, 0, v3
	v_cndmask_b32_e64 v2, v6, 0, vcc
	v_xor_b32_e32 v2, v2, v3
	v_and_b32_e32 v3, 0xffffff00, v2
	v_cmp_eq_u32_e32 vcc, v3, v29
	s_and_saveexec_b64 s[28:29], vcc
	s_cbranch_execz .LBB15_199
; %bb.198:                              ;   in Loop: Header=BB15_195 Depth=1
	v_and_b32_e32 v2, 0xfff, v2
	v_lshlrev_b32_e32 v2, 2, v2
	ds_add_u32 v2, v7 offset:17536
.LBB15_199:                             ;   in Loop: Header=BB15_195 Depth=1
	s_or_b64 exec, exec, s[28:29]
	v_cmp_gt_i32_e32 vcc, 0, v4
	v_cndmask_b32_e64 v2, v6, 0, vcc
	v_xor_b32_e32 v2, v2, v4
	v_and_b32_e32 v3, 0xffffff00, v2
	;; [unrolled: 13-line block ×3, first 2 shown]
	v_cmp_eq_u32_e32 vcc, v3, v29
	s_and_saveexec_b64 s[28:29], vcc
	s_cbranch_execz .LBB15_194
; %bb.202:                              ;   in Loop: Header=BB15_195 Depth=1
	v_and_b32_e32 v2, 0xfff, v2
	v_lshlrev_b32_e32 v2, 2, v2
	ds_add_u32 v2, v7 offset:17536
	s_branch .LBB15_194
.LBB15_203:
	s_or_b64 exec, exec, s[16:17]
	s_and_saveexec_b64 s[16:17], s[10:11]
	s_cbranch_execz .LBB15_206
; %bb.204:
	global_load_dword v1, v[24:25], off
	v_bfrev_b32_e32 v2, -2
	s_waitcnt vmcnt(0)
	v_cmp_gt_i32_e32 vcc, 0, v1
	v_cndmask_b32_e64 v2, v2, 0, vcc
	v_xor_b32_e32 v1, v2, v1
	v_and_b32_e32 v2, 0xffffff00, v1
	s_waitcnt lgkmcnt(0)
	v_cmp_eq_u32_e32 vcc, v2, v29
	s_and_b64 exec, exec, vcc
	s_cbranch_execz .LBB15_206
; %bb.205:
	v_and_b32_e32 v1, 0xfff, v1
	v_lshlrev_b32_e32 v1, 2, v1
	v_mov_b32_e32 v2, 1
	ds_add_u32 v1, v2 offset:17536
.LBB15_206:
	s_or_b64 exec, exec, s[16:17]
	s_and_saveexec_b64 s[10:11], s[12:13]
	s_cbranch_execz .LBB15_209
; %bb.207:
	global_load_dword v1, v[26:27], off
	v_bfrev_b32_e32 v2, -2
	s_waitcnt vmcnt(0)
	v_cmp_gt_i32_e32 vcc, 0, v1
	v_cndmask_b32_e64 v2, v2, 0, vcc
	v_xor_b32_e32 v1, v2, v1
	v_and_b32_e32 v2, 0xffffff00, v1
	s_waitcnt lgkmcnt(0)
	v_cmp_eq_u32_e32 vcc, v2, v29
	s_and_b64 exec, exec, vcc
	s_cbranch_execz .LBB15_209
; %bb.208:
	v_and_b32_e32 v1, 0xfff, v1
	v_lshlrev_b32_e32 v1, 2, v1
	v_mov_b32_e32 v2, 1
	ds_add_u32 v1, v2 offset:17536
.LBB15_209:
	s_or_b64 exec, exec, s[10:11]
	s_waitcnt lgkmcnt(0)
	s_barrier
	flat_load_dword v1, v[14:15] glc
	s_waitcnt vmcnt(0)
	flat_load_dword v2, v[16:17] glc
	s_waitcnt vmcnt(0)
	;; [unrolled: 2-line block ×3, first 2 shown]
	flat_load_dword v4, v[20:21] glc
	s_waitcnt vmcnt(0) lgkmcnt(0)
	ds_write_b32 v37, v1
	ds_write_b32 v38, v2 offset:4096
	ds_write_b32 v39, v3 offset:8192
	;; [unrolled: 1-line block ×3, first 2 shown]
	s_waitcnt lgkmcnt(0)
	s_barrier
	ds_read2_b32 v[4:5], v41 offset1:1
	ds_read2_b32 v[2:3], v41 offset0:2 offset1:3
	s_waitcnt lgkmcnt(0)
	s_barrier
	v_add_u32_e32 v1, v5, v4
	v_add3_u32 v1, v1, v2, v3
	ds_write_b32 v37, v1
	s_waitcnt lgkmcnt(0)
	s_barrier
	s_and_saveexec_b64 s[10:11], s[14:15]
	s_cbranch_execz .LBB15_211
; %bb.210:
	ds_read2_b32 v[6:7], v34 offset1:1
	ds_read2_b32 v[8:9], v34 offset0:2 offset1:3
	ds_read2_b32 v[10:11], v34 offset0:4 offset1:5
	;; [unrolled: 1-line block ×3, first 2 shown]
	v_mbcnt_lo_u32_b32 v32, -1, 0
	s_waitcnt lgkmcnt(3)
	v_add_u32_e32 v22, v7, v6
	s_waitcnt lgkmcnt(2)
	v_add3_u32 v22, v22, v8, v9
	s_waitcnt lgkmcnt(1)
	v_add3_u32 v29, v22, v10, v11
	ds_read2_b32 v[22:23], v34 offset0:8 offset1:9
	ds_read2_b32 v[24:25], v34 offset0:10 offset1:11
	;; [unrolled: 1-line block ×4, first 2 shown]
	s_waitcnt lgkmcnt(4)
	v_add3_u32 v29, v29, v12, v13
	s_waitcnt lgkmcnt(3)
	v_add3_u32 v29, v29, v22, v23
	;; [unrolled: 2-line block ×4, first 2 shown]
	v_mbcnt_hi_u32_b32 v32, -1, v32
	s_waitcnt lgkmcnt(0)
	v_add3_u32 v29, v29, v30, v31
	v_and_b32_e32 v33, 15, v32
	v_cmp_ne_u32_e32 vcc, 0, v33
	v_mov_b32_dpp v36, v29 row_shr:1 row_mask:0xf bank_mask:0xf
	v_cndmask_b32_e32 v36, 0, v36, vcc
	v_add_u32_e32 v29, v36, v29
	v_cmp_lt_u32_e32 vcc, 1, v33
	s_nop 0
	v_mov_b32_dpp v36, v29 row_shr:2 row_mask:0xf bank_mask:0xf
	v_cndmask_b32_e32 v36, 0, v36, vcc
	v_add_u32_e32 v29, v29, v36
	v_cmp_lt_u32_e32 vcc, 3, v33
	s_nop 0
	;; [unrolled: 5-line block ×3, first 2 shown]
	v_mov_b32_dpp v36, v29 row_shr:8 row_mask:0xf bank_mask:0xf
	v_cndmask_b32_e32 v33, 0, v36, vcc
	v_add_u32_e32 v29, v29, v33
	v_bfe_i32 v36, v32, 4, 1
	v_cmp_lt_u32_e32 vcc, 31, v32
	v_mov_b32_dpp v33, v29 row_bcast:15 row_mask:0xf bank_mask:0xf
	v_and_b32_e32 v33, v36, v33
	v_add_u32_e32 v29, v29, v33
	v_and_b32_e32 v36, 64, v32
	s_nop 0
	v_mov_b32_dpp v33, v29 row_bcast:31 row_mask:0xf bank_mask:0xf
	v_cndmask_b32_e32 v33, 0, v33, vcc
	v_add_u32_e32 v29, v29, v33
	v_add_u32_e32 v33, -1, v32
	v_cmp_lt_i32_e32 vcc, v33, v36
	v_cndmask_b32_e32 v32, v33, v32, vcc
	v_lshlrev_b32_e32 v32, 2, v32
	ds_bpermute_b32 v29, v32, v29
	s_waitcnt lgkmcnt(0)
	v_add_u32_e32 v6, v29, v6
	v_cndmask_b32_e64 v1, v6, v1, s[6:7]
	v_add_u32_e32 v6, v1, v7
	ds_write2_b32 v34, v1, v6 offset1:1
	v_add_u32_e32 v1, v6, v8
	v_add_u32_e32 v6, v1, v9
	ds_write2_b32 v34, v1, v6 offset0:2 offset1:3
	v_add_u32_e32 v1, v6, v10
	v_add_u32_e32 v6, v1, v11
	ds_write2_b32 v34, v1, v6 offset0:4 offset1:5
	;; [unrolled: 3-line block ×7, first 2 shown]
.LBB15_211:
	s_or_b64 exec, exec, s[10:11]
	v_mov_b32_e32 v1, 0
	v_mov_b32_e32 v6, 0
	s_waitcnt lgkmcnt(0)
	s_barrier
	s_and_saveexec_b64 s[10:11], s[8:9]
	s_cbranch_execz .LBB15_213
; %bb.212:
	ds_read_b32 v6, v42
.LBB15_213:
	s_or_b64 exec, exec, s[10:11]
	s_waitcnt lgkmcnt(0)
	v_add_u32_e32 v4, v6, v4
	v_add_u32_e32 v5, v4, v5
	v_add_u32_e32 v2, v5, v2
	v_add_u32_e32 v3, v2, v3
	s_barrier
	ds_write2_b32 v41, v4, v5 offset1:1
	ds_write2_b32 v41, v2, v3 offset0:2 offset1:3
	s_waitcnt lgkmcnt(0)
	s_barrier
	ds_read_b32 v2, v37
	ds_read_b32 v3, v38 offset:4096
	ds_read_b32 v4, v39 offset:8192
	;; [unrolled: 1-line block ×3, first 2 shown]
	s_waitcnt lgkmcnt(3)
	flat_store_dword v[14:15], v2
	s_waitcnt vmcnt(0) lgkmcnt(0)
	flat_store_dword v[16:17], v3
	s_waitcnt vmcnt(0)
	flat_store_dword v[18:19], v4
	s_waitcnt vmcnt(0)
	flat_store_dword v[20:21], v5
	s_waitcnt vmcnt(0) lgkmcnt(0)
	s_barrier
	ds_read_b32 v2, v1 offset:12
	s_mov_b64 s[10:11], 0
	s_movk_i32 s12, 0xfff
	v_mov_b32_e32 v3, v0
	s_branch .LBB15_215
.LBB15_214:                             ;   in Loop: Header=BB15_215 Depth=1
	s_or_b64 exec, exec, s[8:9]
	v_add_u32_e32 v3, s38, v3
	v_cmp_lt_u32_e32 vcc, s12, v3
	s_or_b64 s[10:11], vcc, s[10:11]
	v_add_u32_e32 v35, s39, v35
	s_andn2_b64 exec, exec, s[10:11]
	s_cbranch_execz .LBB15_219
.LBB15_215:                             ; =>This Inner Loop Header: Depth=1
	v_cmp_ne_u32_e32 vcc, 0, v3
	v_mov_b32_e32 v4, 0
	s_and_saveexec_b64 s[8:9], vcc
	s_cbranch_execz .LBB15_217
; %bb.216:                              ;   in Loop: Header=BB15_215 Depth=1
	ds_read_b32 v4, v35
.LBB15_217:                             ;   in Loop: Header=BB15_215 Depth=1
	s_or_b64 exec, exec, s[8:9]
	ds_read_b32 v5, v35 offset:4
	s_waitcnt lgkmcnt(1)
	v_cmp_lt_i32_e32 vcc, v4, v28
	s_waitcnt lgkmcnt(0)
	v_cmp_ge_i32_e64 s[8:9], v5, v28
	s_and_b64 s[14:15], vcc, s[8:9]
	s_and_saveexec_b64 s[8:9], s[14:15]
	s_cbranch_execz .LBB15_214
; %bb.218:                              ;   in Loop: Header=BB15_215 Depth=1
	v_sub_u32_e32 v5, v5, v4
	v_sub_u32_e32 v4, v28, v4
	v_or_b32_e32 v2, v2, v3
	ds_write_b64 v1, v[4:5]
	ds_write_b32 v1, v2 offset:12
	s_branch .LBB15_214
.LBB15_219:
	s_or_b64 exec, exec, s[10:11]
	s_and_saveexec_b64 s[8:9], s[6:7]
	s_cbranch_execz .LBB15_221
; %bb.220:
	v_mov_b32_e32 v1, 0
	ds_read_b32 v2, v1 offset:4
	s_waitcnt lgkmcnt(0)
	ds_write_b32 v1, v2 offset:8
.LBB15_221:
	s_or_b64 exec, exec, s[8:9]
	s_mov_b32 s20, 2
	s_waitcnt lgkmcnt(0)
	s_barrier
.LBB15_222:
	s_add_u32 s6, s22, s24
	s_addc_u32 s7, s23, s25
	s_cmp_lg_u64 s[22:23], 0
	s_cselect_b32 s10, s6, 0
	s_cselect_b32 s11, s7, 0
	s_add_u32 s8, s4, 0x58
	s_addc_u32 s9, s5, 0
	s_mov_b64 s[4:5], src_shared_base
	s_mov_b32 s12, s18
	v_mov_b32_e32 v31, v0
	v_mov_b32_e32 v0, s41
	;; [unrolled: 1-line block ×12, first 2 shown]
	s_getpc_b64 s[6:7]
	s_add_u32 s6, s6, _ZN5aiter2ob11last_filterIfiLi12ELb0ELb0EEEvPKT_PKT0_PS2_PS5_S5_S5_PNS0_7CounterIS2_S5_EEbib@rel32@lo+4
	s_addc_u32 s7, s7, _ZN5aiter2ob11last_filterIfiLi12ELb0ELb0EEEvPKT_PKT0_PS2_PS5_S5_S5_PNS0_7CounterIS2_S5_EEbib@rel32@hi+12
	s_swappc_b64 s[30:31], s[6:7]
	s_endpgm
	.section	.rodata,"a",@progbits
	.p2align	6, 0x0
	.amdhsa_kernel _ZN5aiter2ob27radix_topk_one_block_kernelIfiLi12ELi1024ELb0ELb0ELNS0_5PhaseE1EEEvPKT_PKT0_lS8_S8_S6_PS3_PS6_bPci
		.amdhsa_group_segment_fixed_size 33920
		.amdhsa_private_segment_fixed_size 0
		.amdhsa_kernarg_size 344
		.amdhsa_user_sgpr_count 8
		.amdhsa_user_sgpr_private_segment_buffer 1
		.amdhsa_user_sgpr_dispatch_ptr 0
		.amdhsa_user_sgpr_queue_ptr 0
		.amdhsa_user_sgpr_kernarg_segment_ptr 1
		.amdhsa_user_sgpr_dispatch_id 0
		.amdhsa_user_sgpr_flat_scratch_init 1
		.amdhsa_user_sgpr_kernarg_preload_length 0
		.amdhsa_user_sgpr_kernarg_preload_offset 0
		.amdhsa_user_sgpr_private_segment_size 0
		.amdhsa_uses_dynamic_stack 0
		.amdhsa_system_sgpr_private_segment_wavefront_offset 0
		.amdhsa_system_sgpr_workgroup_id_x 1
		.amdhsa_system_sgpr_workgroup_id_y 0
		.amdhsa_system_sgpr_workgroup_id_z 0
		.amdhsa_system_sgpr_workgroup_info 0
		.amdhsa_system_vgpr_workitem_id 0
		.amdhsa_next_free_vgpr 71
		.amdhsa_next_free_sgpr 52
		.amdhsa_accum_offset 60
		.amdhsa_reserve_vcc 1
		.amdhsa_reserve_flat_scratch 1
		.amdhsa_float_round_mode_32 0
		.amdhsa_float_round_mode_16_64 0
		.amdhsa_float_denorm_mode_32 3
		.amdhsa_float_denorm_mode_16_64 3
		.amdhsa_dx10_clamp 1
		.amdhsa_ieee_mode 1
		.amdhsa_fp16_overflow 0
		.amdhsa_tg_split 0
		.amdhsa_exception_fp_ieee_invalid_op 0
		.amdhsa_exception_fp_denorm_src 0
		.amdhsa_exception_fp_ieee_div_zero 0
		.amdhsa_exception_fp_ieee_overflow 0
		.amdhsa_exception_fp_ieee_underflow 0
		.amdhsa_exception_fp_ieee_inexact 0
		.amdhsa_exception_int_div_zero 0
	.end_amdhsa_kernel
	.section	.text._ZN5aiter2ob27radix_topk_one_block_kernelIfiLi12ELi1024ELb0ELb0ELNS0_5PhaseE1EEEvPKT_PKT0_lS8_S8_S6_PS3_PS6_bPci,"axG",@progbits,_ZN5aiter2ob27radix_topk_one_block_kernelIfiLi12ELi1024ELb0ELb0ELNS0_5PhaseE1EEEvPKT_PKT0_lS8_S8_S6_PS3_PS6_bPci,comdat
.Lfunc_end15:
	.size	_ZN5aiter2ob27radix_topk_one_block_kernelIfiLi12ELi1024ELb0ELb0ELNS0_5PhaseE1EEEvPKT_PKT0_lS8_S8_S6_PS3_PS6_bPci, .Lfunc_end15-_ZN5aiter2ob27radix_topk_one_block_kernelIfiLi12ELi1024ELb0ELb0ELNS0_5PhaseE1EEEvPKT_PKT0_lS8_S8_S6_PS3_PS6_bPci
                                        ; -- End function
	.section	.AMDGPU.csdata,"",@progbits
; Kernel info:
; codeLenInByte = 10876
; NumSgprs: 58
; NumVgprs: 59
; NumAgprs: 11
; TotalNumVgprs: 71
; ScratchSize: 0
; MemoryBound: 0
; FloatMode: 240
; IeeeMode: 1
; LDSByteSize: 33920 bytes/workgroup (compile time only)
; SGPRBlocks: 7
; VGPRBlocks: 8
; NumSGPRsForWavesPerEU: 58
; NumVGPRsForWavesPerEU: 71
; AccumOffset: 60
; Occupancy: 4
; WaveLimiterHint : 1
; COMPUTE_PGM_RSRC2:SCRATCH_EN: 0
; COMPUTE_PGM_RSRC2:USER_SGPR: 8
; COMPUTE_PGM_RSRC2:TRAP_HANDLER: 0
; COMPUTE_PGM_RSRC2:TGID_X_EN: 1
; COMPUTE_PGM_RSRC2:TGID_Y_EN: 0
; COMPUTE_PGM_RSRC2:TGID_Z_EN: 0
; COMPUTE_PGM_RSRC2:TIDIG_COMP_CNT: 0
; COMPUTE_PGM_RSRC3_GFX90A:ACCUM_OFFSET: 14
; COMPUTE_PGM_RSRC3_GFX90A:TG_SPLIT: 0
	.section	.text._ZN5aiter2ob27radix_topk_one_block_kernelIfiLi11ELi1024ELb0ELb0ELNS0_5PhaseE1EEEvPKT_PKT0_lS8_S8_S6_PS3_PS6_bPci,"axG",@progbits,_ZN5aiter2ob27radix_topk_one_block_kernelIfiLi11ELi1024ELb0ELb0ELNS0_5PhaseE1EEEvPKT_PKT0_lS8_S8_S6_PS3_PS6_bPci,comdat
	.protected	_ZN5aiter2ob27radix_topk_one_block_kernelIfiLi11ELi1024ELb0ELb0ELNS0_5PhaseE1EEEvPKT_PKT0_lS8_S8_S6_PS3_PS6_bPci ; -- Begin function _ZN5aiter2ob27radix_topk_one_block_kernelIfiLi11ELi1024ELb0ELb0ELNS0_5PhaseE1EEEvPKT_PKT0_lS8_S8_S6_PS3_PS6_bPci
	.globl	_ZN5aiter2ob27radix_topk_one_block_kernelIfiLi11ELi1024ELb0ELb0ELNS0_5PhaseE1EEEvPKT_PKT0_lS8_S8_S6_PS3_PS6_bPci
	.p2align	8
	.type	_ZN5aiter2ob27radix_topk_one_block_kernelIfiLi11ELi1024ELb0ELb0ELNS0_5PhaseE1EEEvPKT_PKT0_lS8_S8_S6_PS3_PS6_bPci,@function
_ZN5aiter2ob27radix_topk_one_block_kernelIfiLi11ELi1024ELb0ELb0ELNS0_5PhaseE1EEEvPKT_PKT0_lS8_S8_S6_PS3_PS6_bPci: ; @_ZN5aiter2ob27radix_topk_one_block_kernelIfiLi11ELi1024ELb0ELb0ELNS0_5PhaseE1EEEvPKT_PKT0_lS8_S8_S6_PS3_PS6_bPci
; %bb.0:
	s_load_dword s14, s[4:5], 0x50
	s_add_u32 flat_scratch_lo, s6, s9
	s_addc_u32 flat_scratch_hi, s7, 0
	s_add_u32 s0, s0, s9
	s_addc_u32 s1, s1, 0
	s_waitcnt lgkmcnt(0)
	s_ashr_i32 s6, s14, 31
	s_mov_b32 s18, s8
	s_mov_b32 s8, 0
	s_mov_b32 s9, s6
	s_cmp_lg_u64 s[8:9], 0
	s_mov_b32 s32, 0
	s_cbranch_scc0 .LBB16_106
; %bb.1:
	s_add_u32 s10, s14, s6
	s_mov_b32 s8, s6
	s_mov_b32 s9, s6
	s_addc_u32 s11, s6, s6
	s_xor_b64 s[12:13], s[10:11], s[8:9]
	v_cvt_f32_u32_e32 v1, s12
	v_cvt_f32_u32_e32 v2, s13
	s_sub_u32 s6, 0, s12
	s_subb_u32 s7, 0, s13
	v_madmk_f32 v1, v2, 0x4f800000, v1
	v_rcp_f32_e32 v1, v1
	v_mul_f32_e32 v1, 0x5f7ffffc, v1
	v_mul_f32_e32 v2, 0x2f800000, v1
	v_trunc_f32_e32 v2, v2
	v_madmk_f32 v1, v2, 0xcf800000, v1
	v_cvt_u32_f32_e32 v2, v2
	v_cvt_u32_f32_e32 v1, v1
	v_readfirstlane_b32 s15, v2
	v_readfirstlane_b32 s16, v1
	s_mul_i32 s17, s6, s15
	s_mul_hi_u32 s20, s6, s16
	s_mul_i32 s19, s7, s16
	s_add_i32 s17, s20, s17
	s_add_i32 s17, s17, s19
	s_mul_i32 s21, s6, s16
	s_mul_hi_u32 s19, s16, s17
	s_mul_i32 s20, s16, s17
	s_mul_hi_u32 s16, s16, s21
	s_add_u32 s16, s16, s20
	s_addc_u32 s19, 0, s19
	s_mul_hi_u32 s22, s15, s21
	s_mul_i32 s21, s15, s21
	s_add_u32 s16, s16, s21
	s_mul_hi_u32 s20, s15, s17
	s_addc_u32 s16, s19, s22
	s_addc_u32 s19, s20, 0
	s_mul_i32 s17, s15, s17
	s_add_u32 s16, s16, s17
	s_addc_u32 s17, 0, s19
	v_add_co_u32_e32 v1, vcc, s16, v1
	s_cmp_lg_u64 vcc, 0
	s_addc_u32 s15, s15, s17
	v_readfirstlane_b32 s17, v1
	s_mul_i32 s16, s6, s15
	s_mul_hi_u32 s19, s6, s17
	s_add_i32 s16, s19, s16
	s_mul_i32 s7, s7, s17
	s_add_i32 s16, s16, s7
	s_mul_i32 s6, s6, s17
	s_mul_hi_u32 s19, s15, s6
	s_mul_i32 s20, s15, s6
	s_mul_i32 s22, s17, s16
	s_mul_hi_u32 s6, s17, s6
	s_mul_hi_u32 s21, s17, s16
	s_add_u32 s6, s6, s22
	s_addc_u32 s17, 0, s21
	s_add_u32 s6, s6, s20
	s_mul_hi_u32 s7, s15, s16
	s_addc_u32 s6, s17, s19
	s_addc_u32 s7, s7, 0
	s_mul_i32 s16, s15, s16
	s_add_u32 s6, s6, s16
	s_addc_u32 s7, 0, s7
	v_add_co_u32_e32 v1, vcc, s6, v1
	s_cmp_lg_u64 vcc, 0
	s_addc_u32 s6, s15, s7
	v_readfirstlane_b32 s15, v1
	s_mul_hi_u32 s7, s18, s6
	s_mul_i32 s6, s18, s6
	s_mul_hi_u32 s15, s18, s15
	s_add_u32 s6, s15, s6
	s_addc_u32 s7, 0, s7
	s_add_u32 s6, s6, 0
	s_addc_u32 s6, s7, 0
	s_addc_u32 s7, 0, 0
	s_add_u32 s15, s6, 0
	s_addc_u32 s16, 0, s7
	s_mul_i32 s6, s12, s16
	s_mul_hi_u32 s7, s12, s15
	s_add_i32 s6, s7, s6
	s_mul_i32 s7, s13, s15
	s_add_i32 s17, s6, s7
	s_mul_i32 s7, s12, s15
	v_mov_b32_e32 v1, s7
	s_sub_i32 s6, 0, s17
	v_sub_co_u32_e32 v1, vcc, s18, v1
	s_cmp_lg_u64 vcc, 0
	s_subb_u32 s19, s6, s13
	v_subrev_co_u32_e64 v2, s[6:7], s12, v1
	s_cmp_lg_u64 s[6:7], 0
	s_subb_u32 s6, s19, 0
	s_cmp_ge_u32 s6, s13
	v_readfirstlane_b32 s19, v2
	s_cselect_b32 s7, -1, 0
	s_cmp_ge_u32 s19, s12
	s_cselect_b32 s19, -1, 0
	s_cmp_eq_u32 s6, s13
	s_cselect_b32 s6, s19, s7
	s_add_u32 s7, s15, 1
	s_addc_u32 s19, s16, 0
	s_add_u32 s20, s15, 2
	s_addc_u32 s21, s16, 0
	s_cmp_lg_u32 s6, 0
	s_cselect_b32 s6, s20, s7
	s_cselect_b32 s7, s21, s19
	s_cmp_lg_u64 vcc, 0
	s_subb_u32 s17, 0, s17
	s_cmp_ge_u32 s17, s13
	v_readfirstlane_b32 s20, v1
	s_cselect_b32 s19, -1, 0
	s_cmp_ge_u32 s20, s12
	s_cselect_b32 s12, -1, 0
	s_cmp_eq_u32 s17, s13
	s_cselect_b32 s12, s12, s19
	s_cmp_lg_u32 s12, 0
	s_cselect_b32 s7, s7, s16
	s_cselect_b32 s6, s6, s15
	s_xor_b64 s[6:7], s[6:7], s[8:9]
	s_sub_u32 s6, s6, s8
	s_subb_u32 s7, s7, s9
	s_cbranch_execnz .LBB16_3
.LBB16_2:
	v_cvt_f32_u32_e32 v1, s14
	s_sub_i32 s6, 0, s14
	s_mov_b32 s7, 0
	v_rcp_iflag_f32_e32 v1, v1
	v_mul_f32_e32 v1, 0x4f7ffffe, v1
	v_cvt_u32_f32_e32 v1, v1
	v_readfirstlane_b32 s8, v1
	s_mul_i32 s6, s6, s8
	s_mul_hi_u32 s6, s8, s6
	s_add_i32 s8, s8, s6
	s_mul_hi_u32 s6, s18, s8
	s_mul_i32 s9, s6, s14
	s_sub_i32 s9, s18, s9
	s_add_i32 s8, s6, 1
	s_sub_i32 s10, s9, s14
	s_cmp_ge_u32 s9, s14
	s_cselect_b32 s6, s8, s6
	s_cselect_b32 s9, s10, s9
	s_add_i32 s8, s6, 1
	s_cmp_ge_u32 s9, s14
	s_cselect_b32 s6, s8, s6
.LBB16_3:
	s_load_dwordx2 s[8:9], s[4:5], 0x20
	s_load_dword s19, s[4:5], 0x28
	s_lshl_b64 s[10:11], s[6:7], 2
	s_mul_i32 s6, s6, s14
	s_waitcnt lgkmcnt(0)
	s_add_u32 s8, s8, s10
	s_addc_u32 s9, s9, s11
	s_load_dword s7, s[8:9], 0x0
	s_sub_i32 s6, s18, s6
	v_cmp_ne_u32_e64 s[8:9], 0, v0
	s_waitcnt lgkmcnt(0)
	s_sub_i32 s7, s7, s14
	s_add_i32 s6, s7, s6
	s_add_i32 s33, s6, 1
	v_cmp_eq_u32_e64 s[6:7], 0, v0
	s_and_saveexec_b64 s[10:11], s[6:7]
	s_cbranch_execz .LBB16_5
; %bb.4:
	v_mov_b32_e32 v5, 0
	v_mov_b32_e32 v2, s19
	;; [unrolled: 1-line block ×4, first 2 shown]
	ds_write_b128 v5, v[2:5]
	ds_write2_b32 v5, v5, v5 offset0:96 offset1:128
.LBB16_5:
	s_or_b64 exec, exec, s[10:11]
	s_load_dwordx2 s[14:15], s[4:5], 0x38
	s_ashr_i32 s10, s19, 31
	s_mul_hi_u32 s11, s19, s18
	s_mul_i32 s10, s10, s18
	s_add_i32 s11, s11, s10
	s_mul_i32 s10, s19, s18
	s_lshl_b64 s[16:17], s[10:11], 2
	s_waitcnt lgkmcnt(0)
	s_add_u32 s36, s14, s16
	s_addc_u32 s37, s15, s17
	s_cmp_gt_i32 s33, s19
	s_mov_b64 s[10:11], -1
	s_barrier
	s_cbranch_scc0 .LBB16_8
; %bb.6:
	s_andn2_b64 vcc, exec, s[10:11]
	s_cbranch_vccz .LBB16_17
.LBB16_7:
	s_endpgm
.LBB16_8:
	v_cmp_gt_i32_e32 vcc, s19, v0
	s_and_saveexec_b64 s[12:13], vcc
	s_cbranch_execz .LBB16_16
; %bb.9:
	v_xad_u32 v1, v0, -1, s19
	s_movk_i32 s10, 0x3ff
	v_cmp_lt_u32_e32 vcc, s10, v1
	s_mov_b64 s[10:11], -1
	v_mov_b32_e32 v2, v0
	s_and_saveexec_b64 s[20:21], vcc
	s_cbranch_execz .LBB16_13
; %bb.10:
	v_lshrrev_b32_e32 v1, 10, v1
	v_add_u32_e32 v6, 1, v1
	v_and_b32_e32 v7, 0x7ffffe, v6
	v_or_b32_e32 v1, 0x400, v0
	s_mov_b32 s24, s33
	s_mov_b64 s[22:23], 0
	v_mov_b32_e32 v8, s37
	v_mov_b32_e32 v3, 0
	;; [unrolled: 1-line block ×3, first 2 shown]
	v_pk_mov_b32 v[4:5], v[0:1], v[0:1] op_sel:[0,1]
.LBB16_11:                              ; =>This Inner Loop Header: Depth=1
	v_cmp_gt_i32_e32 vcc, s24, v5
	v_mov_b32_e32 v2, v4
	v_cndmask_b32_e32 v1, -1, v5, vcc
	v_cmp_gt_i32_e32 vcc, s33, v4
	v_add_u32_e32 v9, -2, v9
	v_lshlrev_b64 v[10:11], 2, v[2:3]
	v_mov_b32_e32 v2, v5
	v_cndmask_b32_e32 v14, -1, v4, vcc
	v_cmp_eq_u32_e32 vcc, 0, v9
	v_add_co_u32_e64 v10, s[10:11], s36, v10
	v_lshlrev_b64 v[12:13], 2, v[2:3]
	v_add_u32_e32 v4, 0x800, v4
	v_add_u32_e32 v5, 0x800, v5
	v_addc_co_u32_e64 v11, s[10:11], v8, v11, s[10:11]
	s_or_b64 s[22:23], vcc, s[22:23]
	v_add_co_u32_e32 v12, vcc, s36, v12
	v_addc_co_u32_e32 v13, vcc, v8, v13, vcc
	global_store_dword v[10:11], v14, off
	global_store_dword v[12:13], v1, off
	s_andn2_b64 exec, exec, s[22:23]
	s_cbranch_execnz .LBB16_11
; %bb.12:
	s_or_b64 exec, exec, s[22:23]
	v_cmp_ne_u32_e32 vcc, v6, v7
	v_lshl_or_b32 v2, v7, 10, v0
	s_orn2_b64 s[10:11], vcc, exec
.LBB16_13:
	s_or_b64 exec, exec, s[20:21]
	s_and_b64 exec, exec, s[10:11]
	s_cbranch_execz .LBB16_16
; %bb.14:
	v_mov_b32_e32 v3, 0
	s_add_u32 s10, s14, s16
	v_lshlrev_b64 v[4:5], 2, v[2:3]
	s_addc_u32 s11, s15, s17
	v_mov_b32_e32 v1, s11
	v_add_co_u32_e32 v4, vcc, s10, v4
	v_addc_co_u32_e32 v5, vcc, v1, v5, vcc
	s_mov_b64 s[14:15], 0
.LBB16_15:                              ; =>This Inner Loop Header: Depth=1
	v_cmp_gt_i32_e32 vcc, s33, v2
	v_cndmask_b32_e32 v1, -1, v2, vcc
	v_add_u32_e32 v2, 0x400, v2
	global_store_dword v[4:5], v1, off
	v_add_co_u32_e32 v4, vcc, 0x1000, v4
	v_cmp_le_i32_e64 s[10:11], s19, v2
	s_or_b64 s[14:15], s[10:11], s[14:15]
	v_addc_co_u32_e32 v5, vcc, 0, v5, vcc
	s_andn2_b64 exec, exec, s[14:15]
	s_cbranch_execnz .LBB16_15
.LBB16_16:
	s_or_b64 exec, exec, s[12:13]
	s_cbranch_execnz .LBB16_7
.LBB16_17:
	s_load_dword s12, s[4:5], 0x64
	s_movk_i32 s10, 0x800
	s_waitcnt lgkmcnt(0)
	s_and_b32 s38, s12, 0xffff
	v_cvt_f32_u32_e32 v1, s38
	v_add_u32_e32 v2, s38, v0
	v_mov_b32_e32 v3, s38
	s_sub_i32 s13, 0, s38
	v_rcp_iflag_f32_e32 v1, v1
	v_cmp_gt_u32_e32 vcc, s10, v2
	v_max_u32_e32 v4, 0x800, v2
	v_addc_co_u32_e64 v2, s[10:11], v0, v3, vcc
	v_mul_f32_e32 v1, 0x4f7ffffe, v1
	v_cvt_u32_f32_e32 v1, v1
	v_sub_u32_e32 v2, v4, v2
	v_mul_lo_u32 v3, s13, v1
	v_mul_hi_u32 v3, v1, v3
	v_add_u32_e32 v1, v1, v3
	v_mul_hi_u32 v1, v2, v1
	v_mul_lo_u32 v3, v1, s38
	v_sub_u32_e32 v2, v2, v3
	v_add_u32_e32 v4, 1, v1
	v_cmp_le_u32_e64 s[10:11], s38, v2
	v_subrev_u32_e32 v3, s38, v2
	v_cndmask_b32_e64 v1, v1, v4, s[10:11]
	v_cndmask_b32_e64 v2, v2, v3, s[10:11]
	v_add_u32_e32 v3, 1, v1
	v_cmp_le_u32_e64 s[10:11], s38, v2
	v_cndmask_b32_e64 v1, v1, v3, s[10:11]
	v_addc_co_u32_e64 v34, s[10:11], 0, v1, vcc
	v_addc_co_u32_e32 v28, vcc, 1, v1, vcc
	v_cmp_lt_u32_e32 vcc, 1, v28
	v_cmp_eq_u16_e64 s[10:11], s12, 1
	s_and_b64 s[28:29], vcc, s[10:11]
	s_mov_b64 s[12:13], -1
	v_mov_b32_e32 v1, v0
	s_and_saveexec_b64 s[10:11], s[28:29]
	s_cbranch_execz .LBB16_26
; %bb.18:
	v_add_u32_e32 v2, -1, v34
	v_lshrrev_b32_e32 v1, 1, v2
	v_add_u32_e32 v1, 1, v1
	v_cmp_lt_u32_e32 vcc, 13, v2
	v_mov_b32_e32 v5, 0
	s_and_saveexec_b64 s[12:13], vcc
	s_cbranch_execz .LBB16_22
; %bb.19:
	v_mov_b32_e32 v3, 0x2380
	v_and_b32_e32 v2, -8, v1
	v_lshl_add_u32 v3, v0, 2, v3
	s_mov_b32 s16, 0
	s_mov_b64 s[14:15], 0
	v_mov_b32_e32 v4, 0
.LBB16_20:                              ; =>This Inner Loop Header: Depth=1
	v_add_u32_e32 v2, -8, v2
	s_add_i32 s16, s16, 16
	v_cmp_eq_u32_e32 vcc, 0, v2
	ds_write2_b32 v3, v4, v4 offset1:1
	ds_write2_b32 v3, v4, v4 offset0:2 offset1:3
	ds_write2_b32 v3, v4, v4 offset0:4 offset1:5
	;; [unrolled: 1-line block ×7, first 2 shown]
	v_add_u32_e32 v3, 64, v3
	s_or_b64 s[14:15], vcc, s[14:15]
	v_mov_b32_e32 v5, s16
	s_andn2_b64 exec, exec, s[14:15]
	s_cbranch_execnz .LBB16_20
; %bb.21:
	s_or_b64 exec, exec, s[14:15]
.LBB16_22:
	s_or_b64 exec, exec, s[12:13]
	v_and_b32_e32 v1, 7, v1
	v_cmp_ne_u32_e32 vcc, 0, v1
	s_and_saveexec_b64 s[12:13], vcc
	s_cbranch_execz .LBB16_25
; %bb.23:
	v_lshlrev_b32_e32 v2, 2, v5
	v_lshlrev_b32_e32 v3, 2, v0
	s_movk_i32 s14, 0x2380
	v_add3_u32 v2, v2, v3, s14
	s_mov_b64 s[14:15], 0
	v_mov_b32_e32 v3, 0
.LBB16_24:                              ; =>This Inner Loop Header: Depth=1
	v_add_u32_e32 v1, -1, v1
	v_cmp_eq_u32_e32 vcc, 0, v1
	ds_write2_b32 v2, v3, v3 offset1:1
	s_or_b64 s[14:15], vcc, s[14:15]
	v_add_u32_e32 v2, 8, v2
	s_andn2_b64 exec, exec, s[14:15]
	s_cbranch_execnz .LBB16_24
.LBB16_25:
	s_or_b64 exec, exec, s[12:13]
	v_and_b32_e32 v2, -2, v28
	v_cmp_ne_u32_e32 vcc, v28, v2
	v_add_u32_e32 v1, v0, v2
	s_orn2_b64 s[12:13], vcc, exec
.LBB16_26:
	s_or_b64 exec, exec, s[10:11]
	s_lshl_b32 s39, s38, 2
	s_and_saveexec_b64 s[10:11], s[12:13]
	s_cbranch_execz .LBB16_29
; %bb.27:
	v_mov_b32_e32 v2, 0x2380
	v_lshl_add_u32 v2, v1, 2, v2
	s_mov_b64 s[12:13], 0
	v_mov_b32_e32 v3, 0
	s_movk_i32 s14, 0x7ff
.LBB16_28:                              ; =>This Inner Loop Header: Depth=1
	v_add_u32_e32 v1, s38, v1
	v_cmp_lt_u32_e32 vcc, s14, v1
	ds_write_b32 v2, v3
	s_or_b64 s[12:13], vcc, s[12:13]
	v_add_u32_e32 v2, s39, v2
	s_andn2_b64 exec, exec, s[12:13]
	s_cbranch_execnz .LBB16_28
.LBB16_29:
	s_or_b64 exec, exec, s[10:11]
	s_and_saveexec_b64 s[10:11], s[6:7]
	s_cbranch_execz .LBB16_31
; %bb.30:
	v_mov_b32_e32 v1, 0
	ds_write_b32 v1, v1 offset:128
.LBB16_31:
	s_or_b64 exec, exec, s[10:11]
	s_load_dwordx2 s[10:11], s[4:5], 0x10
	s_load_dwordx4 s[20:23], s[4:5], 0x0
	s_mov_b32 s13, 0
	v_mov_b32_e32 v1, 0
	s_mov_b64 s[14:15], 0
	s_waitcnt lgkmcnt(0)
	s_mul_i32 s11, s18, s11
	s_mul_hi_u32 s12, s18, s10
	s_mul_i32 s10, s18, s10
	s_add_i32 s11, s12, s11
	s_lshl_b64 s[24:25], s[10:11], 2
	s_add_u32 s41, s20, s24
	s_addc_u32 s40, s21, s25
	s_and_b32 s12, s41, 15
	s_sub_i32 s10, 16, s12
	s_lshr_b32 s10, s10, 2
	s_cmp_lg_u64 s[12:13], 0
	s_cselect_b32 s10, s10, 0
	s_min_i32 s12, s10, s33
	s_ashr_i32 s13, s12, 31
	s_lshl_b64 s[10:11], s[12:13], 2
	s_add_u32 s42, s41, s10
	s_addc_u32 s43, s40, s11
	s_sub_i32 s10, s33, s12
	s_ashr_i32 s11, s10, 31
	s_lshr_b32 s11, s11, 30
	s_add_i32 s10, s10, s11
	s_ashr_i32 s26, s10, 2
	s_ashr_i32 s27, s26, 31
	s_lshl_b32 s13, s38, 4
	s_add_u32 s45, s42, s13
	s_addc_u32 s47, s43, 0
	v_mad_u64_u32 v[18:19], s[10:11], s38, 3, v[0:1]
	s_add_u32 s46, s45, s13
	s_mul_i32 s44, s38, 3
	v_cmp_gt_u64_e64 s[16:17], s[26:27], v[18:19]
	s_addc_u32 s48, s47, 0
	v_mov_b32_e32 v10, v0
	s_barrier
	s_and_saveexec_b64 s[20:21], s[16:17]
	s_cbranch_execz .LBB16_35
; %bb.32:
	v_mov_b32_e32 v14, s43
	v_mov_b32_e32 v15, s47
	;; [unrolled: 1-line block ×5, first 2 shown]
	v_pk_mov_b32 v[12:13], v[18:19], v[18:19] op_sel:[0,1]
	v_pk_mov_b32 v[10:11], v[0:1], v[0:1] op_sel:[0,1]
.LBB16_33:                              ; =>This Inner Loop Header: Depth=1
	v_lshlrev_b64 v[6:7], 4, v[10:11]
	v_add_co_u32_e32 v2, vcc, s42, v6
	v_addc_co_u32_e32 v3, vcc, v14, v7, vcc
	global_load_dwordx4 v[2:5], v[2:3], off
	v_lshlrev_b64 v[8:9], 4, v[12:13]
	v_add_co_u32_e32 v12, vcc, s45, v6
	v_addc_co_u32_e32 v13, vcc, v15, v7, vcc
	global_load_dwordx4 v[22:25], v[12:13], off
	v_add_co_u32_e32 v26, vcc, s46, v6
	v_addc_co_u32_e32 v27, vcc, v20, v7, vcc
	v_add_co_u32_e32 v30, vcc, s42, v8
	v_addc_co_u32_e32 v31, vcc, v14, v9, vcc
	v_add_u32_e32 v10, s39, v10
	v_ashrrev_i32_e32 v11, 31, v10
	s_waitcnt vmcnt(1)
	v_cmp_gt_i32_e32 vcc, 0, v2
	v_cndmask_b32_e64 v6, v16, 0, vcc
	v_cmp_gt_i32_e32 vcc, 0, v3
	v_cndmask_b32_e64 v7, v16, 0, vcc
	;; [unrolled: 2-line block ×4, first 2 shown]
	v_xor_b32_e32 v2, v6, v2
	v_xor_b32_e32 v3, v7, v3
	;; [unrolled: 1-line block ×4, first 2 shown]
	v_lshrrev_b32_e32 v2, 19, v2
	v_lshrrev_b32_e32 v3, 19, v3
	;; [unrolled: 1-line block ×4, first 2 shown]
	v_and_b32_e32 v2, 0x1ffc, v2
	v_and_b32_e32 v3, 0x1ffc, v3
	;; [unrolled: 1-line block ×4, first 2 shown]
	ds_add_u32 v2, v17 offset:9088
	ds_add_u32 v3, v17 offset:9088
	;; [unrolled: 1-line block ×4, first 2 shown]
	global_load_dwordx4 v[6:9], v[26:27], off
	global_load_dwordx4 v[2:5], v[30:31], off
	s_waitcnt vmcnt(2)
	v_cmp_gt_i32_e64 s[10:11], 0, v22
	v_cndmask_b32_e64 v13, v16, 0, s[10:11]
	v_cmp_gt_i32_e64 s[10:11], 0, v23
	v_cndmask_b32_e64 v21, v16, 0, s[10:11]
	;; [unrolled: 2-line block ×4, first 2 shown]
	v_xor_b32_e32 v13, v13, v22
	v_xor_b32_e32 v21, v21, v23
	;; [unrolled: 1-line block ×4, first 2 shown]
	v_lshrrev_b32_e32 v13, 19, v13
	v_lshrrev_b32_e32 v21, 19, v21
	;; [unrolled: 1-line block ×4, first 2 shown]
	v_and_b32_e32 v13, 0x1ffc, v13
	v_and_b32_e32 v21, 0x1ffc, v21
	;; [unrolled: 1-line block ×4, first 2 shown]
	ds_add_u32 v13, v17 offset:9088
	ds_add_u32 v21, v17 offset:9088
	;; [unrolled: 1-line block ×4, first 2 shown]
	v_add_co_u32_e32 v12, vcc, s44, v10
	s_waitcnt vmcnt(1)
	v_cmp_gt_i32_e64 s[10:11], 0, v6
	v_cndmask_b32_e64 v13, v16, 0, s[10:11]
	v_cmp_gt_i32_e64 s[10:11], 0, v7
	v_cndmask_b32_e64 v21, v16, 0, s[10:11]
	;; [unrolled: 2-line block ×4, first 2 shown]
	s_waitcnt vmcnt(0)
	v_cmp_gt_i32_e64 s[10:11], 0, v2
	v_cndmask_b32_e64 v24, v16, 0, s[10:11]
	v_cmp_gt_i32_e64 s[10:11], 0, v3
	v_cndmask_b32_e64 v25, v16, 0, s[10:11]
	;; [unrolled: 2-line block ×4, first 2 shown]
	v_xor_b32_e32 v6, v13, v6
	v_xor_b32_e32 v7, v21, v7
	;; [unrolled: 1-line block ×8, first 2 shown]
	v_lshrrev_b32_e32 v6, 19, v6
	v_lshrrev_b32_e32 v7, 19, v7
	;; [unrolled: 1-line block ×8, first 2 shown]
	v_and_b32_e32 v6, 0x1ffc, v6
	v_and_b32_e32 v7, 0x1ffc, v7
	;; [unrolled: 1-line block ×8, first 2 shown]
	ds_add_u32 v6, v17 offset:9088
	ds_add_u32 v7, v17 offset:9088
	;; [unrolled: 1-line block ×8, first 2 shown]
	v_addc_co_u32_e32 v13, vcc, 0, v11, vcc
	v_cmp_le_u64_e32 vcc, s[26:27], v[12:13]
	s_or_b64 s[14:15], vcc, s[14:15]
	s_andn2_b64 exec, exec, s[14:15]
	s_cbranch_execnz .LBB16_33
; %bb.34:
	s_or_b64 exec, exec, s[14:15]
.LBB16_35:
	s_or_b64 exec, exec, s[20:21]
	v_cmp_gt_i32_e32 vcc, s26, v10
	s_and_saveexec_b64 s[10:11], vcc
	s_cbranch_execz .LBB16_38
; %bb.36:
	s_mov_b64 s[14:15], 0
	v_mov_b32_e32 v2, s43
	v_mov_b32_e32 v3, 0x7fe00000
	;; [unrolled: 1-line block ×3, first 2 shown]
.LBB16_37:                              ; =>This Inner Loop Header: Depth=1
	v_ashrrev_i32_e32 v11, 31, v10
	v_lshlrev_b64 v[6:7], 4, v[10:11]
	v_add_co_u32_e32 v6, vcc, s42, v6
	v_addc_co_u32_e32 v7, vcc, v2, v7, vcc
	global_load_dwordx4 v[6:9], v[6:7], off
	v_add_u32_e32 v10, s38, v10
	s_waitcnt vmcnt(0)
	v_cmp_gt_i32_e32 vcc, 0, v6
	v_cndmask_b32_e64 v5, v3, 0, vcc
	v_cmp_gt_i32_e32 vcc, 0, v7
	v_cndmask_b32_e64 v11, v3, 0, vcc
	;; [unrolled: 2-line block ×3, first 2 shown]
	v_cmp_gt_i32_e32 vcc, 0, v9
	v_xor_b32_e32 v5, v5, v6
	v_cndmask_b32_e64 v13, v3, 0, vcc
	v_xor_b32_e32 v6, v11, v7
	v_xor_b32_e32 v7, v12, v8
	v_lshrrev_b32_e32 v5, 19, v5
	v_xor_b32_e32 v8, v13, v9
	v_lshrrev_b32_e32 v6, 19, v6
	v_lshrrev_b32_e32 v7, 19, v7
	v_and_b32_e32 v5, 0x1ffc, v5
	v_lshrrev_b32_e32 v8, 19, v8
	v_and_b32_e32 v6, 0x1ffc, v6
	v_and_b32_e32 v7, 0x1ffc, v7
	ds_add_u32 v5, v4 offset:9088
	ds_add_u32 v6, v4 offset:9088
	;; [unrolled: 1-line block ×3, first 2 shown]
	v_and_b32_e32 v5, 0x1ffc, v8
	ds_add_u32 v5, v4 offset:9088
	v_cmp_le_i32_e32 vcc, s26, v10
	s_or_b64 s[14:15], vcc, s[14:15]
	s_andn2_b64 exec, exec, s[14:15]
	s_cbranch_execnz .LBB16_37
.LBB16_38:
	s_or_b64 exec, exec, s[10:11]
	v_lshlrev_b32_e32 v2, 2, v0
	v_mov_b32_e32 v3, s40
	v_add_co_u32_e32 v20, vcc, s41, v2
	v_cmp_gt_u32_e64 s[10:11], s12, v0
	v_addc_co_u32_e32 v21, vcc, 0, v3, vcc
	s_and_saveexec_b64 s[14:15], s[10:11]
	s_cbranch_execz .LBB16_40
; %bb.39:
	global_load_dword v2, v[20:21], off
	v_mov_b32_e32 v3, 0x7fe00000
	s_waitcnt vmcnt(0)
	v_cmp_gt_i32_e32 vcc, 0, v2
	v_cndmask_b32_e64 v3, v3, 0, vcc
	v_xor_b32_e32 v2, v3, v2
	v_lshrrev_b32_e32 v2, 19, v2
	v_and_b32_e32 v2, 0x1ffc, v2
	v_mov_b32_e32 v3, 1
	ds_add_u32 v2, v3 offset:9088
.LBB16_40:
	s_or_b64 exec, exec, s[14:15]
	s_lshl_b32 s13, s26, 2
	s_add_i32 s13, s13, s12
	v_add_u32_e32 v2, s13, v0
	v_ashrrev_i32_e32 v3, 31, v2
	v_cmp_gt_i32_e64 s[12:13], s33, v2
	v_lshlrev_b64 v[2:3], 2, v[2:3]
	v_mov_b32_e32 v4, s40
	v_add_co_u32_e32 v22, vcc, s41, v2
	v_addc_co_u32_e32 v23, vcc, v4, v3, vcc
	s_and_saveexec_b64 s[14:15], s[12:13]
	s_cbranch_execz .LBB16_42
; %bb.41:
	global_load_dword v2, v[22:23], off
	v_mov_b32_e32 v3, 0x7fe00000
	s_waitcnt vmcnt(0)
	v_cmp_gt_i32_e32 vcc, 0, v2
	v_cndmask_b32_e64 v3, v3, 0, vcc
	v_xor_b32_e32 v2, v3, v2
	v_lshrrev_b32_e32 v2, 19, v2
	v_and_b32_e32 v2, 0x1ffc, v2
	v_mov_b32_e32 v3, 1
	ds_add_u32 v2, v3 offset:9088
.LBB16_42:
	s_or_b64 exec, exec, s[14:15]
	v_lshlrev_b32_e32 v36, 2, v0
	s_mov_b64 s[14:15], src_shared_base
	v_add_u32_e32 v14, 0x2380, v36
	v_mov_b32_e32 v15, s15
	v_add_u32_e32 v16, 0x3380, v36
	v_mov_b32_e32 v17, s15
	s_waitcnt lgkmcnt(0)
	s_barrier
	flat_load_dword v2, v[14:15] glc
	s_waitcnt vmcnt(0)
	flat_load_dword v3, v[16:17] glc
	s_waitcnt vmcnt(0)
	v_lshrrev_b32_e32 v5, 3, v0
	v_or_b32_e32 v6, 0x400, v0
	v_lshlrev_b32_e32 v7, 1, v0
	v_lshrrev_b32_e32 v8, 4, v0
	v_and_b32_e32 v10, 0x7c, v5
	v_lshrrev_b32_e32 v11, 3, v6
	v_add_lshl_u32 v5, v8, v7, 2
	v_add_u32_e32 v6, v36, v10
	v_and_b32_e32 v7, 0xfc, v11
	v_add_u32_e32 v7, v7, v36
	v_lshrrev_b32_e32 v9, 1, v0
	v_mov_b32_e32 v4, 0x280
	v_lshl_add_u32 v8, v0, 4, v9
	v_cmp_gt_u32_e64 s[14:15], 64, v0
	v_lshl_add_u32 v29, v8, 2, v4
	s_waitcnt lgkmcnt(0)
	ds_write_b32 v6, v2 offset:640
	ds_write_b32 v7, v3 offset:4736
	s_waitcnt lgkmcnt(0)
	s_barrier
	ds_read2_b32 v[2:3], v5 offset0:160 offset1:161
	s_waitcnt lgkmcnt(0)
	s_barrier
	v_add_u32_e32 v8, v3, v2
	ds_write_b32 v6, v8 offset:640
	s_waitcnt lgkmcnt(0)
	s_barrier
	s_and_saveexec_b64 s[20:21], s[14:15]
	s_cbranch_execz .LBB16_44
; %bb.43:
	ds_read2_b32 v[10:11], v29 offset1:1
	ds_read2_b32 v[12:13], v29 offset0:2 offset1:3
	ds_read2_b32 v[24:25], v29 offset0:4 offset1:5
	;; [unrolled: 1-line block ×7, first 2 shown]
	s_waitcnt lgkmcnt(7)
	v_add_u32_e32 v9, v11, v10
	s_waitcnt lgkmcnt(6)
	v_add3_u32 v9, v9, v12, v13
	s_waitcnt lgkmcnt(5)
	v_add3_u32 v9, v9, v24, v25
	;; [unrolled: 2-line block ×5, first 2 shown]
	v_mbcnt_lo_u32_b32 v35, -1, 0
	s_waitcnt lgkmcnt(1)
	v_add3_u32 v9, v9, v38, v39
	v_mbcnt_hi_u32_b32 v35, -1, v35
	s_waitcnt lgkmcnt(0)
	v_add3_u32 v9, v9, v40, v41
	v_and_b32_e32 v37, 15, v35
	v_cmp_ne_u32_e32 vcc, 0, v37
	v_mov_b32_dpp v42, v9 row_shr:1 row_mask:0xf bank_mask:0xf
	v_cndmask_b32_e32 v42, 0, v42, vcc
	v_add_u32_e32 v9, v42, v9
	v_cmp_lt_u32_e32 vcc, 1, v37
	s_nop 0
	v_mov_b32_dpp v42, v9 row_shr:2 row_mask:0xf bank_mask:0xf
	v_cndmask_b32_e32 v42, 0, v42, vcc
	v_add_u32_e32 v9, v9, v42
	v_cmp_lt_u32_e32 vcc, 3, v37
	s_nop 0
	;; [unrolled: 5-line block ×3, first 2 shown]
	v_mov_b32_dpp v42, v9 row_shr:8 row_mask:0xf bank_mask:0xf
	v_cndmask_b32_e32 v37, 0, v42, vcc
	v_add_u32_e32 v9, v9, v37
	v_bfe_i32 v42, v35, 4, 1
	v_cmp_lt_u32_e32 vcc, 31, v35
	v_mov_b32_dpp v37, v9 row_bcast:15 row_mask:0xf bank_mask:0xf
	v_and_b32_e32 v37, v42, v37
	v_add_u32_e32 v9, v9, v37
	v_and_b32_e32 v42, 64, v35
	s_nop 0
	v_mov_b32_dpp v37, v9 row_bcast:31 row_mask:0xf bank_mask:0xf
	v_cndmask_b32_e32 v37, 0, v37, vcc
	v_add_u32_e32 v9, v9, v37
	v_add_u32_e32 v37, -1, v35
	v_cmp_lt_i32_e32 vcc, v37, v42
	v_cndmask_b32_e32 v35, v37, v35, vcc
	v_lshlrev_b32_e32 v35, 2, v35
	ds_bpermute_b32 v9, v35, v9
	s_waitcnt lgkmcnt(0)
	v_add_u32_e32 v9, v9, v10
	v_cndmask_b32_e64 v8, v9, v8, s[6:7]
	v_add_u32_e32 v9, v8, v11
	ds_write2_b32 v29, v8, v9 offset1:1
	v_add_u32_e32 v8, v9, v12
	v_add_u32_e32 v9, v8, v13
	ds_write2_b32 v29, v8, v9 offset0:2 offset1:3
	v_add_u32_e32 v8, v9, v24
	v_add_u32_e32 v9, v8, v25
	ds_write2_b32 v29, v8, v9 offset0:4 offset1:5
	v_add_u32_e32 v8, v9, v26
	v_add_u32_e32 v9, v8, v27
	ds_write2_b32 v29, v8, v9 offset0:6 offset1:7
	v_add_u32_e32 v8, v9, v30
	v_add_u32_e32 v9, v8, v31
	ds_write2_b32 v29, v8, v9 offset0:8 offset1:9
	v_add_u32_e32 v8, v9, v32
	v_add_u32_e32 v9, v8, v33
	ds_write2_b32 v29, v8, v9 offset0:10 offset1:11
	v_add_u32_e32 v8, v9, v38
	v_add_u32_e32 v9, v8, v39
	ds_write2_b32 v29, v8, v9 offset0:12 offset1:13
	v_add_u32_e32 v8, v9, v40
	v_add_u32_e32 v9, v8, v41
	ds_write2_b32 v29, v8, v9 offset0:14 offset1:15
.LBB16_44:
	s_or_b64 exec, exec, s[20:21]
	v_add_u32_e32 v33, 0x280, v5
	v_add_u32_e32 v5, -1, v0
	v_add_u32_e32 v31, 0x280, v6
	v_lshrrev_b32_e32 v6, 5, v5
	v_add_u32_e32 v5, v6, v5
	v_add_u32_e32 v32, 0x280, v7
	v_lshl_add_u32 v35, v5, 2, v4
	v_mov_b32_e32 v4, 0
	v_mov_b32_e32 v5, 0
	s_waitcnt lgkmcnt(0)
	s_barrier
	s_and_saveexec_b64 s[20:21], s[8:9]
	s_cbranch_execz .LBB16_46
; %bb.45:
	ds_read_b32 v5, v35
.LBB16_46:
	s_or_b64 exec, exec, s[20:21]
	s_waitcnt lgkmcnt(0)
	v_add_u32_e32 v2, v5, v2
	v_add_u32_e32 v3, v2, v3
	s_barrier
	ds_write2_b32 v33, v2, v3 offset1:1
	s_waitcnt lgkmcnt(0)
	s_barrier
	ds_read_b32 v2, v31
	ds_read_b32 v3, v32 offset:4096
	s_waitcnt lgkmcnt(1)
	flat_store_dword v[14:15], v2
	s_waitcnt vmcnt(0) lgkmcnt(0)
	flat_store_dword v[16:17], v3
	s_waitcnt vmcnt(0) lgkmcnt(0)
	s_barrier
	ds_read_b32 v2, v4 offset:12
	v_add_u32_e32 v30, 0x237c, v36
	v_lshlrev_b32_e32 v3, 21, v0
	s_lshl_b32 s34, s38, 21
	s_mov_b64 s[30:31], 0
	s_movk_i32 s35, 0x7ff
	v_mov_b32_e32 v5, v30
	v_mov_b32_e32 v6, v0
	s_branch .LBB16_48
.LBB16_47:                              ;   in Loop: Header=BB16_48 Depth=1
	s_or_b64 exec, exec, s[20:21]
	v_add_u32_e32 v6, s38, v6
	v_cmp_lt_u32_e32 vcc, s35, v6
	v_add_u32_e32 v5, s39, v5
	s_or_b64 s[30:31], vcc, s[30:31]
	v_add_u32_e32 v3, s34, v3
	s_andn2_b64 exec, exec, s[30:31]
	s_cbranch_execz .LBB16_52
.LBB16_48:                              ; =>This Inner Loop Header: Depth=1
	v_cmp_ne_u32_e32 vcc, 0, v6
	v_mov_b32_e32 v7, 0
	s_and_saveexec_b64 s[20:21], vcc
	s_cbranch_execz .LBB16_50
; %bb.49:                               ;   in Loop: Header=BB16_48 Depth=1
	ds_read_b32 v7, v5
.LBB16_50:                              ;   in Loop: Header=BB16_48 Depth=1
	s_or_b64 exec, exec, s[20:21]
	ds_read_b32 v8, v5 offset:4
	s_waitcnt lgkmcnt(1)
	v_cmp_gt_i32_e32 vcc, s19, v7
	s_waitcnt lgkmcnt(0)
	v_cmp_le_i32_e64 s[20:21], s19, v8
	s_and_b64 s[50:51], vcc, s[20:21]
	s_and_saveexec_b64 s[20:21], s[50:51]
	s_cbranch_execz .LBB16_47
; %bb.51:                               ;   in Loop: Header=BB16_48 Depth=1
	v_sub_u32_e32 v9, v8, v7
	v_sub_u32_e32 v8, s19, v7
	v_or_b32_e32 v2, v2, v3
	ds_write_b64 v4, v[8:9]
	ds_write_b32 v4, v2 offset:12
	s_branch .LBB16_47
.LBB16_52:
	s_or_b64 exec, exec, s[30:31]
	s_and_saveexec_b64 s[20:21], s[6:7]
	s_cbranch_execz .LBB16_54
; %bb.53:
	v_mov_b32_e32 v2, 0
	ds_read_b32 v3, v2 offset:4
	s_waitcnt lgkmcnt(0)
	ds_write_b32 v2, v3 offset:8
.LBB16_54:
	s_or_b64 exec, exec, s[20:21]
	v_mov_b32_e32 v2, 0
	s_waitcnt lgkmcnt(0)
	s_barrier
	ds_read_b64 v[24:25], v2
	s_mov_b32 s20, 0
	s_waitcnt lgkmcnt(0)
	v_cmp_eq_u32_e32 vcc, v25, v24
	s_cbranch_vccnz .LBB16_220
; %bb.55:
	s_mov_b64 s[30:31], -1
	v_mov_b32_e32 v2, v0
	v_mov_b32_e32 v3, v36
	s_and_saveexec_b64 s[20:21], s[28:29]
	s_cbranch_execz .LBB16_66
; %bb.56:
	v_add_u32_e32 v3, -1, v34
	v_lshrrev_b32_e32 v2, 1, v3
	v_add_u32_e32 v2, 1, v2
	v_cmp_lt_u32_e32 vcc, 13, v3
	v_mov_b32_e32 v6, 0
	s_and_saveexec_b64 s[30:31], vcc
	s_cbranch_execz .LBB16_60
; %bb.57:
	v_and_b32_e32 v3, -8, v2
	v_add_u32_e32 v4, 0x2380, v36
	s_mov_b32 s49, 0
	s_mov_b64 s[34:35], 0
	v_mov_b32_e32 v5, 0
.LBB16_58:                              ; =>This Inner Loop Header: Depth=1
	v_add_u32_e32 v3, -8, v3
	s_add_i32 s49, s49, 16
	v_cmp_eq_u32_e32 vcc, 0, v3
	ds_write2_b32 v4, v5, v5 offset1:1
	ds_write2_b32 v4, v5, v5 offset0:2 offset1:3
	ds_write2_b32 v4, v5, v5 offset0:4 offset1:5
	;; [unrolled: 1-line block ×7, first 2 shown]
	v_add_u32_e32 v4, 64, v4
	s_or_b64 s[34:35], vcc, s[34:35]
	v_mov_b32_e32 v6, s49
	s_andn2_b64 exec, exec, s[34:35]
	s_cbranch_execnz .LBB16_58
; %bb.59:
	s_or_b64 exec, exec, s[34:35]
.LBB16_60:
	s_or_b64 exec, exec, s[30:31]
	v_and_b32_e32 v2, 7, v2
	v_cmp_ne_u32_e32 vcc, 0, v2
	s_and_saveexec_b64 s[30:31], vcc
	s_cbranch_execz .LBB16_63
; %bb.61:
	v_lshlrev_b32_e32 v3, 2, v6
	s_movk_i32 s34, 0x2380
	v_add3_u32 v3, v3, v36, s34
	s_mov_b64 s[34:35], 0
	v_mov_b32_e32 v4, 0
.LBB16_62:                              ; =>This Inner Loop Header: Depth=1
	v_add_u32_e32 v2, -1, v2
	v_cmp_eq_u32_e32 vcc, 0, v2
	ds_write2_b32 v3, v4, v4 offset1:1
	s_or_b64 s[34:35], vcc, s[34:35]
	v_add_u32_e32 v3, 8, v3
	s_andn2_b64 exec, exec, s[34:35]
	s_cbranch_execnz .LBB16_62
.LBB16_63:
	s_or_b64 exec, exec, s[30:31]
	v_and_b32_e32 v4, -2, v28
	v_cmp_ne_u32_e32 vcc, v28, v4
	s_mov_b64 s[30:31], 0
                                        ; implicit-def: $vgpr2
                                        ; implicit-def: $vgpr3
	s_and_saveexec_b64 s[34:35], vcc
; %bb.64:
	v_add_u32_e32 v2, v0, v4
	s_mov_b64 s[30:31], exec
	v_lshlrev_b32_e32 v3, 2, v2
; %bb.65:
	s_or_b64 exec, exec, s[34:35]
	s_orn2_b64 s[30:31], s[30:31], exec
.LBB16_66:
	s_or_b64 exec, exec, s[20:21]
	s_and_saveexec_b64 s[20:21], s[30:31]
	s_cbranch_execz .LBB16_69
; %bb.67:
	v_add_u32_e32 v3, 0x2380, v3
	s_mov_b64 s[30:31], 0
	v_mov_b32_e32 v4, 0
	s_movk_i32 s34, 0x7ff
.LBB16_68:                              ; =>This Inner Loop Header: Depth=1
	v_add_u32_e32 v2, s38, v2
	v_cmp_lt_u32_e32 vcc, s34, v2
	ds_write_b32 v3, v4
	s_or_b64 s[30:31], vcc, s[30:31]
	v_add_u32_e32 v3, s39, v3
	s_andn2_b64 exec, exec, s[30:31]
	s_cbranch_execnz .LBB16_68
.LBB16_69:
	s_or_b64 exec, exec, s[20:21]
	s_and_saveexec_b64 s[20:21], s[6:7]
	s_cbranch_execz .LBB16_71
; %bb.70:
	v_mov_b32_e32 v2, 0
	ds_write_b32 v2, v2 offset:128
.LBB16_71:
	s_or_b64 exec, exec, s[20:21]
	v_mov_b32_e32 v2, 0
	s_waitcnt lgkmcnt(0)
	s_barrier
	ds_read_b32 v25, v2 offset:12
	v_mov_b32_e32 v26, v0
	s_and_saveexec_b64 s[20:21], s[16:17]
	s_cbranch_execz .LBB16_108
; %bb.72:
	s_mov_b64 s[30:31], 0
	v_mov_b32_e32 v37, s43
	v_mov_b32_e32 v38, s47
	v_bfrev_b32_e32 v39, -2
	v_mov_b32_e32 v40, 1
	v_mov_b32_e32 v41, s48
	v_pk_mov_b32 v[10:11], v[18:19], v[18:19] op_sel:[0,1]
	v_pk_mov_b32 v[26:27], v[0:1], v[0:1] op_sel:[0,1]
	s_branch .LBB16_74
.LBB16_73:                              ;   in Loop: Header=BB16_74 Depth=1
	s_or_b64 exec, exec, s[34:35]
	v_add_u32_e32 v26, s39, v26
	v_ashrrev_i32_e32 v27, 31, v26
	v_add_co_u32_e32 v10, vcc, s44, v26
	v_addc_co_u32_e32 v11, vcc, 0, v27, vcc
	v_cmp_le_u64_e32 vcc, s[26:27], v[10:11]
	s_or_b64 s[30:31], vcc, s[30:31]
	s_andn2_b64 exec, exec, s[30:31]
	s_cbranch_execz .LBB16_107
.LBB16_74:                              ; =>This Inner Loop Header: Depth=1
	v_lshlrev_b64 v[12:13], 4, v[26:27]
	v_add_co_u32_e32 v2, vcc, s42, v12
	v_addc_co_u32_e32 v3, vcc, v37, v13, vcc
	global_load_dwordx4 v[2:5], v[2:3], off
	v_add_co_u32_e32 v6, vcc, s45, v12
	v_addc_co_u32_e32 v7, vcc, v38, v13, vcc
	global_load_dwordx4 v[6:9], v[6:7], off
	s_waitcnt vmcnt(1)
	v_cmp_gt_i32_e32 vcc, 0, v2
	v_cndmask_b32_e64 v27, v39, 0, vcc
	v_xor_b32_e32 v2, v27, v2
	v_and_b32_e32 v27, 0xffe00000, v2
	s_waitcnt lgkmcnt(0)
	v_cmp_eq_u32_e32 vcc, v27, v25
	s_and_saveexec_b64 s[34:35], vcc
	s_cbranch_execz .LBB16_76
; %bb.75:                               ;   in Loop: Header=BB16_74 Depth=1
	v_lshrrev_b32_e32 v2, 8, v2
	v_and_b32_e32 v2, 0x1ffc, v2
	ds_add_u32 v2, v40 offset:9088
.LBB16_76:                              ;   in Loop: Header=BB16_74 Depth=1
	s_or_b64 exec, exec, s[34:35]
	v_cmp_gt_i32_e32 vcc, 0, v3
	v_cndmask_b32_e64 v2, v39, 0, vcc
	v_xor_b32_e32 v2, v2, v3
	v_and_b32_e32 v3, 0xffe00000, v2
	v_cmp_eq_u32_e32 vcc, v3, v25
	s_and_saveexec_b64 s[34:35], vcc
	s_cbranch_execz .LBB16_78
; %bb.77:                               ;   in Loop: Header=BB16_74 Depth=1
	v_lshrrev_b32_e32 v2, 8, v2
	v_and_b32_e32 v2, 0x1ffc, v2
	ds_add_u32 v2, v40 offset:9088
.LBB16_78:                              ;   in Loop: Header=BB16_74 Depth=1
	s_or_b64 exec, exec, s[34:35]
	v_cmp_gt_i32_e32 vcc, 0, v4
	v_cndmask_b32_e64 v2, v39, 0, vcc
	v_xor_b32_e32 v2, v2, v4
	v_and_b32_e32 v3, 0xffe00000, v2
	;; [unrolled: 13-line block ×3, first 2 shown]
	v_cmp_eq_u32_e32 vcc, v3, v25
	s_and_saveexec_b64 s[34:35], vcc
	s_cbranch_execz .LBB16_82
; %bb.81:                               ;   in Loop: Header=BB16_74 Depth=1
	v_lshrrev_b32_e32 v2, 8, v2
	v_and_b32_e32 v2, 0x1ffc, v2
	ds_add_u32 v2, v40 offset:9088
.LBB16_82:                              ;   in Loop: Header=BB16_74 Depth=1
	s_or_b64 exec, exec, s[34:35]
	v_add_co_u32_e32 v42, vcc, s46, v12
	v_addc_co_u32_e32 v43, vcc, v41, v13, vcc
	v_lshlrev_b64 v[2:3], 4, v[10:11]
	v_add_co_u32_e32 v44, vcc, s42, v2
	v_addc_co_u32_e32 v45, vcc, v37, v3, vcc
	global_load_dwordx4 v[10:13], v[42:43], off
	global_load_dwordx4 v[2:5], v[44:45], off
	s_waitcnt vmcnt(2)
	v_cmp_gt_i32_e32 vcc, 0, v6
	v_cndmask_b32_e64 v27, v39, 0, vcc
	v_xor_b32_e32 v6, v27, v6
	v_and_b32_e32 v27, 0xffe00000, v6
	v_cmp_eq_u32_e32 vcc, v27, v25
	s_and_saveexec_b64 s[34:35], vcc
	s_cbranch_execz .LBB16_84
; %bb.83:                               ;   in Loop: Header=BB16_74 Depth=1
	v_lshrrev_b32_e32 v6, 8, v6
	v_and_b32_e32 v6, 0x1ffc, v6
	ds_add_u32 v6, v40 offset:9088
.LBB16_84:                              ;   in Loop: Header=BB16_74 Depth=1
	s_or_b64 exec, exec, s[34:35]
	v_cmp_gt_i32_e32 vcc, 0, v7
	v_cndmask_b32_e64 v6, v39, 0, vcc
	v_xor_b32_e32 v6, v6, v7
	v_and_b32_e32 v7, 0xffe00000, v6
	v_cmp_eq_u32_e32 vcc, v7, v25
	s_and_saveexec_b64 s[34:35], vcc
	s_cbranch_execz .LBB16_86
; %bb.85:                               ;   in Loop: Header=BB16_74 Depth=1
	v_lshrrev_b32_e32 v6, 8, v6
	v_and_b32_e32 v6, 0x1ffc, v6
	ds_add_u32 v6, v40 offset:9088
.LBB16_86:                              ;   in Loop: Header=BB16_74 Depth=1
	s_or_b64 exec, exec, s[34:35]
	;; [unrolled: 13-line block ×4, first 2 shown]
	s_waitcnt vmcnt(1)
	v_cmp_gt_i32_e32 vcc, 0, v10
	v_cndmask_b32_e64 v6, v39, 0, vcc
	v_xor_b32_e32 v6, v6, v10
	v_and_b32_e32 v7, 0xffe00000, v6
	v_cmp_eq_u32_e32 vcc, v7, v25
	s_and_saveexec_b64 s[34:35], vcc
	s_cbranch_execz .LBB16_92
; %bb.91:                               ;   in Loop: Header=BB16_74 Depth=1
	v_lshrrev_b32_e32 v6, 8, v6
	v_and_b32_e32 v6, 0x1ffc, v6
	ds_add_u32 v6, v40 offset:9088
.LBB16_92:                              ;   in Loop: Header=BB16_74 Depth=1
	s_or_b64 exec, exec, s[34:35]
	v_cmp_gt_i32_e32 vcc, 0, v11
	v_cndmask_b32_e64 v6, v39, 0, vcc
	v_xor_b32_e32 v6, v6, v11
	v_and_b32_e32 v7, 0xffe00000, v6
	v_cmp_eq_u32_e32 vcc, v7, v25
	s_and_saveexec_b64 s[34:35], vcc
	s_cbranch_execz .LBB16_94
; %bb.93:                               ;   in Loop: Header=BB16_74 Depth=1
	v_lshrrev_b32_e32 v6, 8, v6
	v_and_b32_e32 v6, 0x1ffc, v6
	ds_add_u32 v6, v40 offset:9088
.LBB16_94:                              ;   in Loop: Header=BB16_74 Depth=1
	s_or_b64 exec, exec, s[34:35]
	;; [unrolled: 13-line block ×4, first 2 shown]
	s_waitcnt vmcnt(0)
	v_cmp_gt_i32_e32 vcc, 0, v2
	v_cndmask_b32_e64 v6, v39, 0, vcc
	v_xor_b32_e32 v2, v6, v2
	v_and_b32_e32 v6, 0xffe00000, v2
	v_cmp_eq_u32_e32 vcc, v6, v25
	s_and_saveexec_b64 s[34:35], vcc
	s_cbranch_execz .LBB16_100
; %bb.99:                               ;   in Loop: Header=BB16_74 Depth=1
	v_lshrrev_b32_e32 v2, 8, v2
	v_and_b32_e32 v2, 0x1ffc, v2
	ds_add_u32 v2, v40 offset:9088
.LBB16_100:                             ;   in Loop: Header=BB16_74 Depth=1
	s_or_b64 exec, exec, s[34:35]
	v_cmp_gt_i32_e32 vcc, 0, v3
	v_cndmask_b32_e64 v2, v39, 0, vcc
	v_xor_b32_e32 v2, v2, v3
	v_and_b32_e32 v3, 0xffe00000, v2
	v_cmp_eq_u32_e32 vcc, v3, v25
	s_and_saveexec_b64 s[34:35], vcc
	s_cbranch_execz .LBB16_102
; %bb.101:                              ;   in Loop: Header=BB16_74 Depth=1
	v_lshrrev_b32_e32 v2, 8, v2
	v_and_b32_e32 v2, 0x1ffc, v2
	ds_add_u32 v2, v40 offset:9088
.LBB16_102:                             ;   in Loop: Header=BB16_74 Depth=1
	s_or_b64 exec, exec, s[34:35]
	v_cmp_gt_i32_e32 vcc, 0, v4
	v_cndmask_b32_e64 v2, v39, 0, vcc
	v_xor_b32_e32 v2, v2, v4
	v_and_b32_e32 v3, 0xffe00000, v2
	v_cmp_eq_u32_e32 vcc, v3, v25
	s_and_saveexec_b64 s[34:35], vcc
	s_cbranch_execz .LBB16_104
; %bb.103:                              ;   in Loop: Header=BB16_74 Depth=1
	v_lshrrev_b32_e32 v2, 8, v2
	v_and_b32_e32 v2, 0x1ffc, v2
	ds_add_u32 v2, v40 offset:9088
.LBB16_104:                             ;   in Loop: Header=BB16_74 Depth=1
	s_or_b64 exec, exec, s[34:35]
	v_cmp_gt_i32_e32 vcc, 0, v5
	v_cndmask_b32_e64 v2, v39, 0, vcc
	v_xor_b32_e32 v2, v2, v5
	v_and_b32_e32 v3, 0xffe00000, v2
	v_cmp_eq_u32_e32 vcc, v3, v25
	s_and_saveexec_b64 s[34:35], vcc
	s_cbranch_execz .LBB16_73
; %bb.105:                              ;   in Loop: Header=BB16_74 Depth=1
	v_lshrrev_b32_e32 v2, 8, v2
	v_and_b32_e32 v2, 0x1ffc, v2
	ds_add_u32 v2, v40 offset:9088
	s_branch .LBB16_73
.LBB16_106:
                                        ; implicit-def: $sgpr6_sgpr7
	s_branch .LBB16_2
.LBB16_107:
	s_or_b64 exec, exec, s[30:31]
.LBB16_108:
	s_or_b64 exec, exec, s[20:21]
	v_cmp_gt_i32_e32 vcc, s26, v26
	s_and_saveexec_b64 s[20:21], vcc
	s_cbranch_execz .LBB16_119
; %bb.109:
	s_mov_b64 s[30:31], 0
	v_mov_b32_e32 v6, s43
	v_bfrev_b32_e32 v7, -2
	v_mov_b32_e32 v8, 1
	s_branch .LBB16_111
.LBB16_110:                             ;   in Loop: Header=BB16_111 Depth=1
	s_or_b64 exec, exec, s[34:35]
	v_add_u32_e32 v26, s38, v26
	v_cmp_le_i32_e32 vcc, s26, v26
	s_or_b64 s[30:31], vcc, s[30:31]
	s_andn2_b64 exec, exec, s[30:31]
	s_cbranch_execz .LBB16_119
.LBB16_111:                             ; =>This Inner Loop Header: Depth=1
	v_ashrrev_i32_e32 v27, 31, v26
	v_lshlrev_b64 v[2:3], 4, v[26:27]
	v_add_co_u32_e32 v2, vcc, s42, v2
	v_addc_co_u32_e32 v3, vcc, v6, v3, vcc
	global_load_dwordx4 v[2:5], v[2:3], off
	s_waitcnt vmcnt(0)
	v_cmp_gt_i32_e32 vcc, 0, v2
	v_cndmask_b32_e64 v9, v7, 0, vcc
	v_xor_b32_e32 v2, v9, v2
	v_and_b32_e32 v9, 0xffe00000, v2
	s_waitcnt lgkmcnt(0)
	v_cmp_eq_u32_e32 vcc, v9, v25
	s_and_saveexec_b64 s[34:35], vcc
	s_cbranch_execz .LBB16_113
; %bb.112:                              ;   in Loop: Header=BB16_111 Depth=1
	v_lshrrev_b32_e32 v2, 8, v2
	v_and_b32_e32 v2, 0x1ffc, v2
	ds_add_u32 v2, v8 offset:9088
.LBB16_113:                             ;   in Loop: Header=BB16_111 Depth=1
	s_or_b64 exec, exec, s[34:35]
	v_cmp_gt_i32_e32 vcc, 0, v3
	v_cndmask_b32_e64 v2, v7, 0, vcc
	v_xor_b32_e32 v2, v2, v3
	v_and_b32_e32 v3, 0xffe00000, v2
	v_cmp_eq_u32_e32 vcc, v3, v25
	s_and_saveexec_b64 s[34:35], vcc
	s_cbranch_execz .LBB16_115
; %bb.114:                              ;   in Loop: Header=BB16_111 Depth=1
	v_lshrrev_b32_e32 v2, 8, v2
	v_and_b32_e32 v2, 0x1ffc, v2
	ds_add_u32 v2, v8 offset:9088
.LBB16_115:                             ;   in Loop: Header=BB16_111 Depth=1
	s_or_b64 exec, exec, s[34:35]
	v_cmp_gt_i32_e32 vcc, 0, v4
	v_cndmask_b32_e64 v2, v7, 0, vcc
	v_xor_b32_e32 v2, v2, v4
	v_and_b32_e32 v3, 0xffe00000, v2
	;; [unrolled: 13-line block ×3, first 2 shown]
	v_cmp_eq_u32_e32 vcc, v3, v25
	s_and_saveexec_b64 s[34:35], vcc
	s_cbranch_execz .LBB16_110
; %bb.118:                              ;   in Loop: Header=BB16_111 Depth=1
	v_lshrrev_b32_e32 v2, 8, v2
	v_and_b32_e32 v2, 0x1ffc, v2
	ds_add_u32 v2, v8 offset:9088
	s_branch .LBB16_110
.LBB16_119:
	s_or_b64 exec, exec, s[20:21]
	s_and_saveexec_b64 s[20:21], s[10:11]
	s_cbranch_execz .LBB16_122
; %bb.120:
	global_load_dword v2, v[20:21], off
	v_bfrev_b32_e32 v3, -2
	s_waitcnt vmcnt(0)
	v_cmp_gt_i32_e32 vcc, 0, v2
	v_cndmask_b32_e64 v3, v3, 0, vcc
	v_xor_b32_e32 v2, v3, v2
	v_and_b32_e32 v3, 0xffe00000, v2
	s_waitcnt lgkmcnt(0)
	v_cmp_eq_u32_e32 vcc, v3, v25
	s_and_b64 exec, exec, vcc
	s_cbranch_execz .LBB16_122
; %bb.121:
	v_lshrrev_b32_e32 v2, 8, v2
	v_and_b32_e32 v2, 0x1ffc, v2
	v_mov_b32_e32 v3, 1
	ds_add_u32 v2, v3 offset:9088
.LBB16_122:
	s_or_b64 exec, exec, s[20:21]
	s_and_saveexec_b64 s[20:21], s[12:13]
	s_cbranch_execz .LBB16_125
; %bb.123:
	global_load_dword v2, v[22:23], off
	v_bfrev_b32_e32 v3, -2
	s_waitcnt vmcnt(0)
	v_cmp_gt_i32_e32 vcc, 0, v2
	v_cndmask_b32_e64 v3, v3, 0, vcc
	v_xor_b32_e32 v2, v3, v2
	v_and_b32_e32 v3, 0xffe00000, v2
	s_waitcnt lgkmcnt(0)
	v_cmp_eq_u32_e32 vcc, v3, v25
	s_and_b64 exec, exec, vcc
	s_cbranch_execz .LBB16_125
; %bb.124:
	v_lshrrev_b32_e32 v2, 8, v2
	v_and_b32_e32 v2, 0x1ffc, v2
	v_mov_b32_e32 v3, 1
	ds_add_u32 v2, v3 offset:9088
.LBB16_125:
	s_or_b64 exec, exec, s[20:21]
	s_waitcnt lgkmcnt(0)
	s_barrier
	flat_load_dword v2, v[14:15] glc
	s_waitcnt vmcnt(0)
	flat_load_dword v3, v[16:17] glc
	s_waitcnt vmcnt(0) lgkmcnt(0)
	ds_write_b32 v31, v2
	ds_write_b32 v32, v3 offset:4096
	s_waitcnt lgkmcnt(0)
	s_barrier
	ds_read2_b32 v[2:3], v33 offset1:1
	s_waitcnt lgkmcnt(0)
	s_barrier
	v_add_u32_e32 v4, v3, v2
	ds_write_b32 v31, v4
	s_waitcnt lgkmcnt(0)
	s_barrier
	s_and_saveexec_b64 s[20:21], s[14:15]
	s_cbranch_execz .LBB16_127
; %bb.126:
	ds_read2_b32 v[6:7], v29 offset1:1
	ds_read2_b32 v[8:9], v29 offset0:2 offset1:3
	ds_read2_b32 v[10:11], v29 offset0:4 offset1:5
	;; [unrolled: 1-line block ×7, first 2 shown]
	s_waitcnt lgkmcnt(7)
	v_add_u32_e32 v5, v7, v6
	s_waitcnt lgkmcnt(6)
	v_add3_u32 v5, v5, v8, v9
	s_waitcnt lgkmcnt(5)
	v_add3_u32 v5, v5, v10, v11
	;; [unrolled: 2-line block ×5, first 2 shown]
	v_mbcnt_lo_u32_b32 v25, -1, 0
	s_waitcnt lgkmcnt(1)
	v_add3_u32 v5, v5, v40, v41
	v_mbcnt_hi_u32_b32 v25, -1, v25
	s_waitcnt lgkmcnt(0)
	v_add3_u32 v5, v5, v42, v43
	v_and_b32_e32 v37, 15, v25
	v_cmp_ne_u32_e32 vcc, 0, v37
	v_mov_b32_dpp v44, v5 row_shr:1 row_mask:0xf bank_mask:0xf
	v_cndmask_b32_e32 v44, 0, v44, vcc
	v_add_u32_e32 v5, v44, v5
	v_cmp_lt_u32_e32 vcc, 1, v37
	s_nop 0
	v_mov_b32_dpp v44, v5 row_shr:2 row_mask:0xf bank_mask:0xf
	v_cndmask_b32_e32 v44, 0, v44, vcc
	v_add_u32_e32 v5, v5, v44
	v_cmp_lt_u32_e32 vcc, 3, v37
	s_nop 0
	;; [unrolled: 5-line block ×3, first 2 shown]
	v_mov_b32_dpp v44, v5 row_shr:8 row_mask:0xf bank_mask:0xf
	v_cndmask_b32_e32 v37, 0, v44, vcc
	v_add_u32_e32 v5, v5, v37
	v_bfe_i32 v44, v25, 4, 1
	v_cmp_lt_u32_e32 vcc, 31, v25
	v_mov_b32_dpp v37, v5 row_bcast:15 row_mask:0xf bank_mask:0xf
	v_and_b32_e32 v37, v44, v37
	v_add_u32_e32 v5, v5, v37
	v_and_b32_e32 v44, 64, v25
	s_nop 0
	v_mov_b32_dpp v37, v5 row_bcast:31 row_mask:0xf bank_mask:0xf
	v_cndmask_b32_e32 v37, 0, v37, vcc
	v_add_u32_e32 v5, v5, v37
	v_add_u32_e32 v37, -1, v25
	v_cmp_lt_i32_e32 vcc, v37, v44
	v_cndmask_b32_e32 v25, v37, v25, vcc
	v_lshlrev_b32_e32 v25, 2, v25
	ds_bpermute_b32 v5, v25, v5
	s_waitcnt lgkmcnt(0)
	v_add_u32_e32 v5, v5, v6
	v_cndmask_b32_e64 v4, v5, v4, s[6:7]
	v_add_u32_e32 v5, v4, v7
	ds_write2_b32 v29, v4, v5 offset1:1
	v_add_u32_e32 v4, v5, v8
	v_add_u32_e32 v5, v4, v9
	ds_write2_b32 v29, v4, v5 offset0:2 offset1:3
	v_add_u32_e32 v4, v5, v10
	v_add_u32_e32 v5, v4, v11
	ds_write2_b32 v29, v4, v5 offset0:4 offset1:5
	;; [unrolled: 3-line block ×7, first 2 shown]
.LBB16_127:
	s_or_b64 exec, exec, s[20:21]
	v_mov_b32_e32 v4, 0
	v_mov_b32_e32 v5, 0
	s_waitcnt lgkmcnt(0)
	s_barrier
	s_and_saveexec_b64 s[20:21], s[8:9]
	s_cbranch_execz .LBB16_129
; %bb.128:
	ds_read_b32 v5, v35
.LBB16_129:
	s_or_b64 exec, exec, s[20:21]
	s_waitcnt lgkmcnt(0)
	v_add_u32_e32 v2, v5, v2
	v_add_u32_e32 v3, v2, v3
	s_barrier
	ds_write2_b32 v33, v2, v3 offset1:1
	s_waitcnt lgkmcnt(0)
	s_barrier
	ds_read_b32 v2, v31
	ds_read_b32 v3, v32 offset:4096
	s_waitcnt lgkmcnt(1)
	flat_store_dword v[14:15], v2
	s_waitcnt vmcnt(0) lgkmcnt(0)
	flat_store_dword v[16:17], v3
	s_waitcnt vmcnt(0) lgkmcnt(0)
	s_barrier
	ds_read_b32 v2, v4 offset:12
	v_lshlrev_b32_e32 v3, 10, v0
	s_lshl_b32 s34, s38, 10
	s_mov_b64 s[30:31], 0
	s_movk_i32 s35, 0x7ff
	v_mov_b32_e32 v5, v30
	v_mov_b32_e32 v6, v0
	s_branch .LBB16_131
.LBB16_130:                             ;   in Loop: Header=BB16_131 Depth=1
	s_or_b64 exec, exec, s[20:21]
	v_add_u32_e32 v6, s38, v6
	v_cmp_lt_u32_e32 vcc, s35, v6
	v_add_u32_e32 v3, s34, v3
	s_or_b64 s[30:31], vcc, s[30:31]
	v_add_u32_e32 v5, s39, v5
	s_andn2_b64 exec, exec, s[30:31]
	s_cbranch_execz .LBB16_135
.LBB16_131:                             ; =>This Inner Loop Header: Depth=1
	v_cmp_ne_u32_e32 vcc, 0, v6
	v_mov_b32_e32 v7, 0
	s_and_saveexec_b64 s[20:21], vcc
	s_cbranch_execz .LBB16_133
; %bb.132:                              ;   in Loop: Header=BB16_131 Depth=1
	ds_read_b32 v7, v5
.LBB16_133:                             ;   in Loop: Header=BB16_131 Depth=1
	s_or_b64 exec, exec, s[20:21]
	ds_read_b32 v8, v5 offset:4
	s_waitcnt lgkmcnt(1)
	v_cmp_lt_i32_e32 vcc, v7, v24
	s_waitcnt lgkmcnt(0)
	v_cmp_ge_i32_e64 s[20:21], v8, v24
	s_and_b64 s[50:51], vcc, s[20:21]
	s_and_saveexec_b64 s[20:21], s[50:51]
	s_cbranch_execz .LBB16_130
; %bb.134:                              ;   in Loop: Header=BB16_131 Depth=1
	v_sub_u32_e32 v9, v8, v7
	v_sub_u32_e32 v8, v24, v7
	v_or_b32_e32 v2, v2, v3
	ds_write_b64 v4, v[8:9]
	ds_write_b32 v4, v2 offset:12
	s_branch .LBB16_130
.LBB16_135:
	s_or_b64 exec, exec, s[30:31]
	s_and_saveexec_b64 s[20:21], s[6:7]
	s_cbranch_execz .LBB16_137
; %bb.136:
	v_mov_b32_e32 v2, 0
	ds_read_b32 v3, v2 offset:4
	s_waitcnt lgkmcnt(0)
	ds_write_b32 v2, v3 offset:8
.LBB16_137:
	s_or_b64 exec, exec, s[20:21]
	v_mov_b32_e32 v2, 0
	s_waitcnt lgkmcnt(0)
	s_barrier
	ds_read_b64 v[24:25], v2
	s_mov_b32 s20, 1
	s_waitcnt lgkmcnt(0)
	v_cmp_eq_u32_e32 vcc, v25, v24
	s_cbranch_vccnz .LBB16_220
; %bb.138:
	s_mov_b64 s[30:31], -1
	v_mov_b32_e32 v2, v0
	s_and_saveexec_b64 s[20:21], s[28:29]
	s_cbranch_execz .LBB16_149
; %bb.139:
	v_add_u32_e32 v3, -1, v34
	v_lshrrev_b32_e32 v2, 1, v3
	v_add_u32_e32 v2, 1, v2
	v_cmp_lt_u32_e32 vcc, 13, v3
	v_mov_b32_e32 v6, 0
	s_and_saveexec_b64 s[28:29], vcc
	s_cbranch_execz .LBB16_143
; %bb.140:
	v_and_b32_e32 v3, -8, v2
	v_add_u32_e32 v4, 0x2380, v36
	s_mov_b32 s34, 0
	s_mov_b64 s[30:31], 0
	v_mov_b32_e32 v5, 0
.LBB16_141:                             ; =>This Inner Loop Header: Depth=1
	v_add_u32_e32 v3, -8, v3
	s_add_i32 s34, s34, 16
	v_cmp_eq_u32_e32 vcc, 0, v3
	ds_write2_b32 v4, v5, v5 offset1:1
	ds_write2_b32 v4, v5, v5 offset0:2 offset1:3
	ds_write2_b32 v4, v5, v5 offset0:4 offset1:5
	;; [unrolled: 1-line block ×7, first 2 shown]
	v_add_u32_e32 v4, 64, v4
	s_or_b64 s[30:31], vcc, s[30:31]
	v_mov_b32_e32 v6, s34
	s_andn2_b64 exec, exec, s[30:31]
	s_cbranch_execnz .LBB16_141
; %bb.142:
	s_or_b64 exec, exec, s[30:31]
.LBB16_143:
	s_or_b64 exec, exec, s[28:29]
	v_and_b32_e32 v2, 7, v2
	v_cmp_ne_u32_e32 vcc, 0, v2
	s_and_saveexec_b64 s[28:29], vcc
	s_cbranch_execz .LBB16_146
; %bb.144:
	v_lshlrev_b32_e32 v3, 2, v6
	s_movk_i32 s30, 0x2380
	v_add3_u32 v3, v3, v36, s30
	s_mov_b64 s[30:31], 0
	v_mov_b32_e32 v4, 0
.LBB16_145:                             ; =>This Inner Loop Header: Depth=1
	v_add_u32_e32 v2, -1, v2
	v_cmp_eq_u32_e32 vcc, 0, v2
	ds_write2_b32 v3, v4, v4 offset1:1
	s_or_b64 s[30:31], vcc, s[30:31]
	v_add_u32_e32 v3, 8, v3
	s_andn2_b64 exec, exec, s[30:31]
	s_cbranch_execnz .LBB16_145
.LBB16_146:
	s_or_b64 exec, exec, s[28:29]
	v_and_b32_e32 v3, -2, v28
	v_cmp_ne_u32_e32 vcc, v28, v3
	s_mov_b64 s[28:29], 0
                                        ; implicit-def: $vgpr2
                                        ; implicit-def: $vgpr36
	s_and_saveexec_b64 s[30:31], vcc
; %bb.147:
	v_add_u32_e32 v2, v0, v3
	s_mov_b64 s[28:29], exec
	v_lshlrev_b32_e32 v36, 2, v2
; %bb.148:
	s_or_b64 exec, exec, s[30:31]
	s_orn2_b64 s[30:31], s[28:29], exec
.LBB16_149:
	s_or_b64 exec, exec, s[20:21]
	s_and_saveexec_b64 s[20:21], s[30:31]
	s_cbranch_execz .LBB16_152
; %bb.150:
	v_add_u32_e32 v3, 0x2380, v36
	s_mov_b64 s[28:29], 0
	v_mov_b32_e32 v4, 0
	s_movk_i32 s30, 0x7ff
.LBB16_151:                             ; =>This Inner Loop Header: Depth=1
	v_add_u32_e32 v2, s38, v2
	v_cmp_lt_u32_e32 vcc, s30, v2
	ds_write_b32 v3, v4
	s_or_b64 s[28:29], vcc, s[28:29]
	v_add_u32_e32 v3, s39, v3
	s_andn2_b64 exec, exec, s[28:29]
	s_cbranch_execnz .LBB16_151
.LBB16_152:
	s_or_b64 exec, exec, s[20:21]
	s_and_saveexec_b64 s[20:21], s[6:7]
	s_cbranch_execz .LBB16_154
; %bb.153:
	v_mov_b32_e32 v2, 0
	ds_write_b32 v2, v2 offset:128
.LBB16_154:
	s_or_b64 exec, exec, s[20:21]
	v_mov_b32_e32 v2, 0
	s_waitcnt lgkmcnt(0)
	s_barrier
	ds_read_b32 v25, v2 offset:12
	v_mov_b32_e32 v26, v0
	s_and_saveexec_b64 s[20:21], s[16:17]
	s_cbranch_execz .LBB16_190
; %bb.155:
	s_mov_b64 s[16:17], 0
	v_mov_b32_e32 v28, s43
	v_mov_b32_e32 v34, s47
	v_bfrev_b32_e32 v36, -2
	v_mov_b32_e32 v37, 1
	v_mov_b32_e32 v38, s48
	v_pk_mov_b32 v[26:27], v[0:1], v[0:1] op_sel:[0,1]
	s_branch .LBB16_157
.LBB16_156:                             ;   in Loop: Header=BB16_157 Depth=1
	s_or_b64 exec, exec, s[28:29]
	v_add_u32_e32 v26, s39, v26
	v_ashrrev_i32_e32 v27, 31, v26
	v_add_co_u32_e32 v18, vcc, s44, v26
	v_addc_co_u32_e32 v19, vcc, 0, v27, vcc
	v_cmp_le_u64_e32 vcc, s[26:27], v[18:19]
	s_or_b64 s[16:17], vcc, s[16:17]
	s_andn2_b64 exec, exec, s[16:17]
	s_cbranch_execz .LBB16_189
.LBB16_157:                             ; =>This Inner Loop Header: Depth=1
	v_lshlrev_b64 v[10:11], 4, v[26:27]
	v_add_co_u32_e32 v2, vcc, s42, v10
	v_addc_co_u32_e32 v3, vcc, v28, v11, vcc
	global_load_dwordx4 v[2:5], v[2:3], off
	v_add_co_u32_e32 v6, vcc, s45, v10
	v_addc_co_u32_e32 v7, vcc, v34, v11, vcc
	global_load_dwordx4 v[6:9], v[6:7], off
	s_waitcnt vmcnt(1)
	v_cmp_gt_i32_e32 vcc, 0, v2
	v_cndmask_b32_e64 v1, v36, 0, vcc
	v_xor_b32_e32 v1, v1, v2
	v_and_b32_e32 v2, 0xfffffc00, v1
	s_waitcnt lgkmcnt(0)
	v_cmp_eq_u32_e32 vcc, v2, v25
	s_and_saveexec_b64 s[28:29], vcc
	s_cbranch_execz .LBB16_159
; %bb.158:                              ;   in Loop: Header=BB16_157 Depth=1
	v_and_b32_e32 v1, 0x7ff, v1
	v_lshlrev_b32_e32 v1, 2, v1
	ds_add_u32 v1, v37 offset:9088
.LBB16_159:                             ;   in Loop: Header=BB16_157 Depth=1
	s_or_b64 exec, exec, s[28:29]
	v_cmp_gt_i32_e32 vcc, 0, v3
	v_cndmask_b32_e64 v1, v36, 0, vcc
	v_xor_b32_e32 v1, v1, v3
	v_and_b32_e32 v2, 0xfffffc00, v1
	v_cmp_eq_u32_e32 vcc, v2, v25
	s_and_saveexec_b64 s[28:29], vcc
	s_cbranch_execz .LBB16_161
; %bb.160:                              ;   in Loop: Header=BB16_157 Depth=1
	v_and_b32_e32 v1, 0x7ff, v1
	v_lshlrev_b32_e32 v1, 2, v1
	ds_add_u32 v1, v37 offset:9088
.LBB16_161:                             ;   in Loop: Header=BB16_157 Depth=1
	s_or_b64 exec, exec, s[28:29]
	v_cmp_gt_i32_e32 vcc, 0, v4
	v_cndmask_b32_e64 v1, v36, 0, vcc
	v_xor_b32_e32 v1, v1, v4
	v_and_b32_e32 v2, 0xfffffc00, v1
	;; [unrolled: 13-line block ×3, first 2 shown]
	v_cmp_eq_u32_e32 vcc, v2, v25
	s_and_saveexec_b64 s[28:29], vcc
	s_cbranch_execz .LBB16_165
; %bb.164:                              ;   in Loop: Header=BB16_157 Depth=1
	v_and_b32_e32 v1, 0x7ff, v1
	v_lshlrev_b32_e32 v1, 2, v1
	ds_add_u32 v1, v37 offset:9088
.LBB16_165:                             ;   in Loop: Header=BB16_157 Depth=1
	s_or_b64 exec, exec, s[28:29]
	v_add_co_u32_e32 v40, vcc, s46, v10
	v_addc_co_u32_e32 v41, vcc, v38, v11, vcc
	v_lshlrev_b64 v[2:3], 4, v[18:19]
	v_add_co_u32_e32 v18, vcc, s42, v2
	v_addc_co_u32_e32 v19, vcc, v28, v3, vcc
	global_load_dwordx4 v[10:13], v[40:41], off
	global_load_dwordx4 v[2:5], v[18:19], off
	s_waitcnt vmcnt(2)
	v_cmp_gt_i32_e32 vcc, 0, v6
	v_cndmask_b32_e64 v1, v36, 0, vcc
	v_xor_b32_e32 v1, v1, v6
	v_and_b32_e32 v6, 0xfffffc00, v1
	v_cmp_eq_u32_e32 vcc, v6, v25
	s_and_saveexec_b64 s[28:29], vcc
	s_cbranch_execz .LBB16_167
; %bb.166:                              ;   in Loop: Header=BB16_157 Depth=1
	v_and_b32_e32 v1, 0x7ff, v1
	v_lshlrev_b32_e32 v1, 2, v1
	ds_add_u32 v1, v37 offset:9088
.LBB16_167:                             ;   in Loop: Header=BB16_157 Depth=1
	s_or_b64 exec, exec, s[28:29]
	v_cmp_gt_i32_e32 vcc, 0, v7
	v_cndmask_b32_e64 v1, v36, 0, vcc
	v_xor_b32_e32 v1, v1, v7
	v_and_b32_e32 v6, 0xfffffc00, v1
	v_cmp_eq_u32_e32 vcc, v6, v25
	s_and_saveexec_b64 s[28:29], vcc
	s_cbranch_execz .LBB16_169
; %bb.168:                              ;   in Loop: Header=BB16_157 Depth=1
	v_and_b32_e32 v1, 0x7ff, v1
	v_lshlrev_b32_e32 v1, 2, v1
	ds_add_u32 v1, v37 offset:9088
.LBB16_169:                             ;   in Loop: Header=BB16_157 Depth=1
	s_or_b64 exec, exec, s[28:29]
	;; [unrolled: 13-line block ×4, first 2 shown]
	s_waitcnt vmcnt(1)
	v_cmp_gt_i32_e32 vcc, 0, v10
	v_cndmask_b32_e64 v1, v36, 0, vcc
	v_xor_b32_e32 v1, v1, v10
	v_and_b32_e32 v6, 0xfffffc00, v1
	v_cmp_eq_u32_e32 vcc, v6, v25
	s_and_saveexec_b64 s[28:29], vcc
	s_cbranch_execz .LBB16_175
; %bb.174:                              ;   in Loop: Header=BB16_157 Depth=1
	v_and_b32_e32 v1, 0x7ff, v1
	v_lshlrev_b32_e32 v1, 2, v1
	ds_add_u32 v1, v37 offset:9088
.LBB16_175:                             ;   in Loop: Header=BB16_157 Depth=1
	s_or_b64 exec, exec, s[28:29]
	v_cmp_gt_i32_e32 vcc, 0, v11
	v_cndmask_b32_e64 v1, v36, 0, vcc
	v_xor_b32_e32 v1, v1, v11
	v_and_b32_e32 v6, 0xfffffc00, v1
	v_cmp_eq_u32_e32 vcc, v6, v25
	s_and_saveexec_b64 s[28:29], vcc
	s_cbranch_execz .LBB16_177
; %bb.176:                              ;   in Loop: Header=BB16_157 Depth=1
	v_and_b32_e32 v1, 0x7ff, v1
	v_lshlrev_b32_e32 v1, 2, v1
	ds_add_u32 v1, v37 offset:9088
.LBB16_177:                             ;   in Loop: Header=BB16_157 Depth=1
	s_or_b64 exec, exec, s[28:29]
	;; [unrolled: 13-line block ×4, first 2 shown]
	s_waitcnt vmcnt(0)
	v_cmp_gt_i32_e32 vcc, 0, v2
	v_cndmask_b32_e64 v1, v36, 0, vcc
	v_xor_b32_e32 v1, v1, v2
	v_and_b32_e32 v2, 0xfffffc00, v1
	v_cmp_eq_u32_e32 vcc, v2, v25
	s_and_saveexec_b64 s[28:29], vcc
	s_cbranch_execz .LBB16_183
; %bb.182:                              ;   in Loop: Header=BB16_157 Depth=1
	v_and_b32_e32 v1, 0x7ff, v1
	v_lshlrev_b32_e32 v1, 2, v1
	ds_add_u32 v1, v37 offset:9088
.LBB16_183:                             ;   in Loop: Header=BB16_157 Depth=1
	s_or_b64 exec, exec, s[28:29]
	v_cmp_gt_i32_e32 vcc, 0, v3
	v_cndmask_b32_e64 v1, v36, 0, vcc
	v_xor_b32_e32 v1, v1, v3
	v_and_b32_e32 v2, 0xfffffc00, v1
	v_cmp_eq_u32_e32 vcc, v2, v25
	s_and_saveexec_b64 s[28:29], vcc
	s_cbranch_execz .LBB16_185
; %bb.184:                              ;   in Loop: Header=BB16_157 Depth=1
	v_and_b32_e32 v1, 0x7ff, v1
	v_lshlrev_b32_e32 v1, 2, v1
	ds_add_u32 v1, v37 offset:9088
.LBB16_185:                             ;   in Loop: Header=BB16_157 Depth=1
	s_or_b64 exec, exec, s[28:29]
	;; [unrolled: 13-line block ×3, first 2 shown]
	v_cmp_gt_i32_e32 vcc, 0, v5
	v_cndmask_b32_e64 v1, v36, 0, vcc
	v_xor_b32_e32 v1, v1, v5
	v_and_b32_e32 v2, 0xfffffc00, v1
	v_cmp_eq_u32_e32 vcc, v2, v25
	s_and_saveexec_b64 s[28:29], vcc
	s_cbranch_execz .LBB16_156
; %bb.188:                              ;   in Loop: Header=BB16_157 Depth=1
	v_and_b32_e32 v1, 0x7ff, v1
	v_lshlrev_b32_e32 v1, 2, v1
	ds_add_u32 v1, v37 offset:9088
	s_branch .LBB16_156
.LBB16_189:
	s_or_b64 exec, exec, s[16:17]
.LBB16_190:
	s_or_b64 exec, exec, s[20:21]
	v_cmp_gt_i32_e32 vcc, s26, v26
	s_and_saveexec_b64 s[16:17], vcc
	s_cbranch_execz .LBB16_201
; %bb.191:
	s_mov_b64 s[20:21], 0
	v_mov_b32_e32 v1, s43
	v_bfrev_b32_e32 v6, -2
	v_mov_b32_e32 v7, 1
	s_branch .LBB16_193
.LBB16_192:                             ;   in Loop: Header=BB16_193 Depth=1
	s_or_b64 exec, exec, s[28:29]
	v_add_u32_e32 v26, s38, v26
	v_cmp_le_i32_e32 vcc, s26, v26
	s_or_b64 s[20:21], vcc, s[20:21]
	s_andn2_b64 exec, exec, s[20:21]
	s_cbranch_execz .LBB16_201
.LBB16_193:                             ; =>This Inner Loop Header: Depth=1
	v_ashrrev_i32_e32 v27, 31, v26
	v_lshlrev_b64 v[2:3], 4, v[26:27]
	v_add_co_u32_e32 v2, vcc, s42, v2
	v_addc_co_u32_e32 v3, vcc, v1, v3, vcc
	global_load_dwordx4 v[2:5], v[2:3], off
	s_waitcnt vmcnt(0)
	v_cmp_gt_i32_e32 vcc, 0, v2
	v_cndmask_b32_e64 v8, v6, 0, vcc
	v_xor_b32_e32 v2, v8, v2
	v_and_b32_e32 v8, 0xfffffc00, v2
	s_waitcnt lgkmcnt(0)
	v_cmp_eq_u32_e32 vcc, v8, v25
	s_and_saveexec_b64 s[28:29], vcc
	s_cbranch_execz .LBB16_195
; %bb.194:                              ;   in Loop: Header=BB16_193 Depth=1
	v_and_b32_e32 v2, 0x7ff, v2
	v_lshlrev_b32_e32 v2, 2, v2
	ds_add_u32 v2, v7 offset:9088
.LBB16_195:                             ;   in Loop: Header=BB16_193 Depth=1
	s_or_b64 exec, exec, s[28:29]
	v_cmp_gt_i32_e32 vcc, 0, v3
	v_cndmask_b32_e64 v2, v6, 0, vcc
	v_xor_b32_e32 v2, v2, v3
	v_and_b32_e32 v3, 0xfffffc00, v2
	v_cmp_eq_u32_e32 vcc, v3, v25
	s_and_saveexec_b64 s[28:29], vcc
	s_cbranch_execz .LBB16_197
; %bb.196:                              ;   in Loop: Header=BB16_193 Depth=1
	v_and_b32_e32 v2, 0x7ff, v2
	v_lshlrev_b32_e32 v2, 2, v2
	ds_add_u32 v2, v7 offset:9088
.LBB16_197:                             ;   in Loop: Header=BB16_193 Depth=1
	s_or_b64 exec, exec, s[28:29]
	v_cmp_gt_i32_e32 vcc, 0, v4
	v_cndmask_b32_e64 v2, v6, 0, vcc
	v_xor_b32_e32 v2, v2, v4
	v_and_b32_e32 v3, 0xfffffc00, v2
	;; [unrolled: 13-line block ×3, first 2 shown]
	v_cmp_eq_u32_e32 vcc, v3, v25
	s_and_saveexec_b64 s[28:29], vcc
	s_cbranch_execz .LBB16_192
; %bb.200:                              ;   in Loop: Header=BB16_193 Depth=1
	v_and_b32_e32 v2, 0x7ff, v2
	v_lshlrev_b32_e32 v2, 2, v2
	ds_add_u32 v2, v7 offset:9088
	s_branch .LBB16_192
.LBB16_201:
	s_or_b64 exec, exec, s[16:17]
	s_and_saveexec_b64 s[16:17], s[10:11]
	s_cbranch_execz .LBB16_204
; %bb.202:
	global_load_dword v1, v[20:21], off
	v_bfrev_b32_e32 v2, -2
	s_waitcnt vmcnt(0)
	v_cmp_gt_i32_e32 vcc, 0, v1
	v_cndmask_b32_e64 v2, v2, 0, vcc
	v_xor_b32_e32 v1, v2, v1
	v_and_b32_e32 v2, 0xfffffc00, v1
	s_waitcnt lgkmcnt(0)
	v_cmp_eq_u32_e32 vcc, v2, v25
	s_and_b64 exec, exec, vcc
	s_cbranch_execz .LBB16_204
; %bb.203:
	v_and_b32_e32 v1, 0x7ff, v1
	v_lshlrev_b32_e32 v1, 2, v1
	v_mov_b32_e32 v2, 1
	ds_add_u32 v1, v2 offset:9088
.LBB16_204:
	s_or_b64 exec, exec, s[16:17]
	s_and_saveexec_b64 s[10:11], s[12:13]
	s_cbranch_execz .LBB16_207
; %bb.205:
	global_load_dword v1, v[22:23], off
	v_bfrev_b32_e32 v2, -2
	s_waitcnt vmcnt(0)
	v_cmp_gt_i32_e32 vcc, 0, v1
	v_cndmask_b32_e64 v2, v2, 0, vcc
	v_xor_b32_e32 v1, v2, v1
	v_and_b32_e32 v2, 0xfffffc00, v1
	s_waitcnt lgkmcnt(0)
	v_cmp_eq_u32_e32 vcc, v2, v25
	s_and_b64 exec, exec, vcc
	s_cbranch_execz .LBB16_207
; %bb.206:
	v_and_b32_e32 v1, 0x7ff, v1
	v_lshlrev_b32_e32 v1, 2, v1
	v_mov_b32_e32 v2, 1
	ds_add_u32 v1, v2 offset:9088
.LBB16_207:
	s_or_b64 exec, exec, s[10:11]
	s_waitcnt lgkmcnt(0)
	s_barrier
	flat_load_dword v1, v[14:15] glc
	s_waitcnt vmcnt(0)
	flat_load_dword v2, v[16:17] glc
	s_waitcnt vmcnt(0) lgkmcnt(0)
	ds_write_b32 v31, v1
	ds_write_b32 v32, v2 offset:4096
	s_waitcnt lgkmcnt(0)
	s_barrier
	ds_read2_b32 v[2:3], v33 offset1:1
	s_waitcnt lgkmcnt(0)
	s_barrier
	v_add_u32_e32 v1, v3, v2
	ds_write_b32 v31, v1
	s_waitcnt lgkmcnt(0)
	s_barrier
	s_and_saveexec_b64 s[10:11], s[14:15]
	s_cbranch_execz .LBB16_209
; %bb.208:
	ds_read2_b32 v[4:5], v29 offset1:1
	ds_read2_b32 v[6:7], v29 offset0:2 offset1:3
	ds_read2_b32 v[8:9], v29 offset0:4 offset1:5
	;; [unrolled: 1-line block ×3, first 2 shown]
	v_mbcnt_lo_u32_b32 v26, -1, 0
	s_waitcnt lgkmcnt(3)
	v_add_u32_e32 v12, v5, v4
	s_waitcnt lgkmcnt(2)
	v_add3_u32 v12, v12, v6, v7
	s_waitcnt lgkmcnt(1)
	v_add3_u32 v25, v12, v8, v9
	ds_read2_b32 v[12:13], v29 offset0:8 offset1:9
	ds_read2_b32 v[18:19], v29 offset0:10 offset1:11
	;; [unrolled: 1-line block ×4, first 2 shown]
	s_waitcnt lgkmcnt(4)
	v_add3_u32 v25, v25, v10, v11
	s_waitcnt lgkmcnt(3)
	v_add3_u32 v25, v25, v12, v13
	;; [unrolled: 2-line block ×4, first 2 shown]
	v_mbcnt_hi_u32_b32 v26, -1, v26
	s_waitcnt lgkmcnt(0)
	v_add3_u32 v25, v25, v22, v23
	v_and_b32_e32 v27, 15, v26
	v_cmp_ne_u32_e32 vcc, 0, v27
	v_mov_b32_dpp v28, v25 row_shr:1 row_mask:0xf bank_mask:0xf
	v_cndmask_b32_e32 v28, 0, v28, vcc
	v_add_u32_e32 v25, v28, v25
	v_cmp_lt_u32_e32 vcc, 1, v27
	s_nop 0
	v_mov_b32_dpp v28, v25 row_shr:2 row_mask:0xf bank_mask:0xf
	v_cndmask_b32_e32 v28, 0, v28, vcc
	v_add_u32_e32 v25, v25, v28
	v_cmp_lt_u32_e32 vcc, 3, v27
	s_nop 0
	v_mov_b32_dpp v28, v25 row_shr:4 row_mask:0xf bank_mask:0xf
	v_cndmask_b32_e32 v28, 0, v28, vcc
	v_add_u32_e32 v25, v25, v28
	v_cmp_lt_u32_e32 vcc, 7, v27
	s_nop 0
	v_mov_b32_dpp v28, v25 row_shr:8 row_mask:0xf bank_mask:0xf
	v_cndmask_b32_e32 v27, 0, v28, vcc
	v_add_u32_e32 v25, v25, v27
	v_bfe_i32 v28, v26, 4, 1
	v_cmp_lt_u32_e32 vcc, 31, v26
	v_mov_b32_dpp v27, v25 row_bcast:15 row_mask:0xf bank_mask:0xf
	v_and_b32_e32 v27, v28, v27
	v_add_u32_e32 v25, v25, v27
	v_and_b32_e32 v28, 64, v26
	s_nop 0
	v_mov_b32_dpp v27, v25 row_bcast:31 row_mask:0xf bank_mask:0xf
	v_cndmask_b32_e32 v27, 0, v27, vcc
	v_add_u32_e32 v25, v25, v27
	v_add_u32_e32 v27, -1, v26
	v_cmp_lt_i32_e32 vcc, v27, v28
	v_cndmask_b32_e32 v26, v27, v26, vcc
	v_lshlrev_b32_e32 v26, 2, v26
	ds_bpermute_b32 v25, v26, v25
	s_waitcnt lgkmcnt(0)
	v_add_u32_e32 v4, v25, v4
	v_cndmask_b32_e64 v1, v4, v1, s[6:7]
	v_add_u32_e32 v4, v1, v5
	ds_write2_b32 v29, v1, v4 offset1:1
	v_add_u32_e32 v1, v4, v6
	v_add_u32_e32 v4, v1, v7
	ds_write2_b32 v29, v1, v4 offset0:2 offset1:3
	v_add_u32_e32 v1, v4, v8
	v_add_u32_e32 v4, v1, v9
	ds_write2_b32 v29, v1, v4 offset0:4 offset1:5
	;; [unrolled: 3-line block ×7, first 2 shown]
.LBB16_209:
	s_or_b64 exec, exec, s[10:11]
	v_mov_b32_e32 v1, 0
	v_mov_b32_e32 v4, 0
	s_waitcnt lgkmcnt(0)
	s_barrier
	s_and_saveexec_b64 s[10:11], s[8:9]
	s_cbranch_execz .LBB16_211
; %bb.210:
	ds_read_b32 v4, v35
.LBB16_211:
	s_or_b64 exec, exec, s[10:11]
	s_waitcnt lgkmcnt(0)
	v_add_u32_e32 v2, v4, v2
	v_add_u32_e32 v3, v2, v3
	s_barrier
	ds_write2_b32 v33, v2, v3 offset1:1
	s_waitcnt lgkmcnt(0)
	s_barrier
	ds_read_b32 v2, v31
	ds_read_b32 v3, v32 offset:4096
	s_waitcnt lgkmcnt(1)
	flat_store_dword v[14:15], v2
	s_waitcnt vmcnt(0) lgkmcnt(0)
	flat_store_dword v[16:17], v3
	s_waitcnt vmcnt(0) lgkmcnt(0)
	s_barrier
	ds_read_b32 v2, v1 offset:12
	s_mov_b64 s[10:11], 0
	s_movk_i32 s12, 0x7ff
	v_mov_b32_e32 v3, v0
	s_branch .LBB16_213
.LBB16_212:                             ;   in Loop: Header=BB16_213 Depth=1
	s_or_b64 exec, exec, s[8:9]
	v_add_u32_e32 v3, s38, v3
	v_cmp_lt_u32_e32 vcc, s12, v3
	s_or_b64 s[10:11], vcc, s[10:11]
	v_add_u32_e32 v30, s39, v30
	s_andn2_b64 exec, exec, s[10:11]
	s_cbranch_execz .LBB16_217
.LBB16_213:                             ; =>This Inner Loop Header: Depth=1
	v_cmp_ne_u32_e32 vcc, 0, v3
	v_mov_b32_e32 v4, 0
	s_and_saveexec_b64 s[8:9], vcc
	s_cbranch_execz .LBB16_215
; %bb.214:                              ;   in Loop: Header=BB16_213 Depth=1
	ds_read_b32 v4, v30
.LBB16_215:                             ;   in Loop: Header=BB16_213 Depth=1
	s_or_b64 exec, exec, s[8:9]
	ds_read_b32 v5, v30 offset:4
	s_waitcnt lgkmcnt(1)
	v_cmp_lt_i32_e32 vcc, v4, v24
	s_waitcnt lgkmcnt(0)
	v_cmp_ge_i32_e64 s[8:9], v5, v24
	s_and_b64 s[14:15], vcc, s[8:9]
	s_and_saveexec_b64 s[8:9], s[14:15]
	s_cbranch_execz .LBB16_212
; %bb.216:                              ;   in Loop: Header=BB16_213 Depth=1
	v_sub_u32_e32 v5, v5, v4
	v_sub_u32_e32 v4, v24, v4
	v_or_b32_e32 v2, v2, v3
	ds_write_b64 v1, v[4:5]
	ds_write_b32 v1, v2 offset:12
	s_branch .LBB16_212
.LBB16_217:
	s_or_b64 exec, exec, s[10:11]
	s_and_saveexec_b64 s[8:9], s[6:7]
	s_cbranch_execz .LBB16_219
; %bb.218:
	v_mov_b32_e32 v1, 0
	ds_read_b32 v2, v1 offset:4
	s_waitcnt lgkmcnt(0)
	ds_write_b32 v1, v2 offset:8
.LBB16_219:
	s_or_b64 exec, exec, s[8:9]
	s_mov_b32 s20, 2
	s_waitcnt lgkmcnt(0)
	s_barrier
.LBB16_220:
	s_add_u32 s6, s22, s24
	s_addc_u32 s7, s23, s25
	s_cmp_lg_u64 s[22:23], 0
	s_cselect_b32 s10, s6, 0
	s_cselect_b32 s11, s7, 0
	s_add_u32 s8, s4, 0x58
	s_addc_u32 s9, s5, 0
	s_mov_b64 s[4:5], src_shared_base
	s_mov_b32 s12, s18
	v_mov_b32_e32 v31, v0
	v_mov_b32_e32 v0, s41
	;; [unrolled: 1-line block ×12, first 2 shown]
	s_getpc_b64 s[6:7]
	s_add_u32 s6, s6, _ZN5aiter2ob11last_filterIfiLi11ELb0ELb0EEEvPKT_PKT0_PS2_PS5_S5_S5_PNS0_7CounterIS2_S5_EEbib@rel32@lo+4
	s_addc_u32 s7, s7, _ZN5aiter2ob11last_filterIfiLi11ELb0ELb0EEEvPKT_PKT0_PS2_PS5_S5_S5_PNS0_7CounterIS2_S5_EEbib@rel32@hi+12
	s_swappc_b64 s[30:31], s[6:7]
	s_endpgm
	.section	.rodata,"a",@progbits
	.p2align	6, 0x0
	.amdhsa_kernel _ZN5aiter2ob27radix_topk_one_block_kernelIfiLi11ELi1024ELb0ELb0ELNS0_5PhaseE1EEEvPKT_PKT0_lS8_S8_S6_PS3_PS6_bPci
		.amdhsa_group_segment_fixed_size 17280
		.amdhsa_private_segment_fixed_size 0
		.amdhsa_kernarg_size 344
		.amdhsa_user_sgpr_count 8
		.amdhsa_user_sgpr_private_segment_buffer 1
		.amdhsa_user_sgpr_dispatch_ptr 0
		.amdhsa_user_sgpr_queue_ptr 0
		.amdhsa_user_sgpr_kernarg_segment_ptr 1
		.amdhsa_user_sgpr_dispatch_id 0
		.amdhsa_user_sgpr_flat_scratch_init 1
		.amdhsa_user_sgpr_kernarg_preload_length 0
		.amdhsa_user_sgpr_kernarg_preload_offset 0
		.amdhsa_user_sgpr_private_segment_size 0
		.amdhsa_uses_dynamic_stack 0
		.amdhsa_system_sgpr_private_segment_wavefront_offset 0
		.amdhsa_system_sgpr_workgroup_id_x 1
		.amdhsa_system_sgpr_workgroup_id_y 0
		.amdhsa_system_sgpr_workgroup_id_z 0
		.amdhsa_system_sgpr_workgroup_info 0
		.amdhsa_system_vgpr_workitem_id 0
		.amdhsa_next_free_vgpr 71
		.amdhsa_next_free_sgpr 52
		.amdhsa_accum_offset 60
		.amdhsa_reserve_vcc 1
		.amdhsa_reserve_flat_scratch 1
		.amdhsa_float_round_mode_32 0
		.amdhsa_float_round_mode_16_64 0
		.amdhsa_float_denorm_mode_32 3
		.amdhsa_float_denorm_mode_16_64 3
		.amdhsa_dx10_clamp 1
		.amdhsa_ieee_mode 1
		.amdhsa_fp16_overflow 0
		.amdhsa_tg_split 0
		.amdhsa_exception_fp_ieee_invalid_op 0
		.amdhsa_exception_fp_denorm_src 0
		.amdhsa_exception_fp_ieee_div_zero 0
		.amdhsa_exception_fp_ieee_overflow 0
		.amdhsa_exception_fp_ieee_underflow 0
		.amdhsa_exception_fp_ieee_inexact 0
		.amdhsa_exception_int_div_zero 0
	.end_amdhsa_kernel
	.section	.text._ZN5aiter2ob27radix_topk_one_block_kernelIfiLi11ELi1024ELb0ELb0ELNS0_5PhaseE1EEEvPKT_PKT0_lS8_S8_S6_PS3_PS6_bPci,"axG",@progbits,_ZN5aiter2ob27radix_topk_one_block_kernelIfiLi11ELi1024ELb0ELb0ELNS0_5PhaseE1EEEvPKT_PKT0_lS8_S8_S6_PS3_PS6_bPci,comdat
.Lfunc_end16:
	.size	_ZN5aiter2ob27radix_topk_one_block_kernelIfiLi11ELi1024ELb0ELb0ELNS0_5PhaseE1EEEvPKT_PKT0_lS8_S8_S6_PS3_PS6_bPci, .Lfunc_end16-_ZN5aiter2ob27radix_topk_one_block_kernelIfiLi11ELi1024ELb0ELb0ELNS0_5PhaseE1EEEvPKT_PKT0_lS8_S8_S6_PS3_PS6_bPci
                                        ; -- End function
	.section	.AMDGPU.csdata,"",@progbits
; Kernel info:
; codeLenInByte = 10452
; NumSgprs: 58
; NumVgprs: 59
; NumAgprs: 11
; TotalNumVgprs: 71
; ScratchSize: 0
; MemoryBound: 0
; FloatMode: 240
; IeeeMode: 1
; LDSByteSize: 17280 bytes/workgroup (compile time only)
; SGPRBlocks: 7
; VGPRBlocks: 8
; NumSGPRsForWavesPerEU: 58
; NumVGPRsForWavesPerEU: 71
; AccumOffset: 60
; Occupancy: 7
; WaveLimiterHint : 1
; COMPUTE_PGM_RSRC2:SCRATCH_EN: 0
; COMPUTE_PGM_RSRC2:USER_SGPR: 8
; COMPUTE_PGM_RSRC2:TRAP_HANDLER: 0
; COMPUTE_PGM_RSRC2:TGID_X_EN: 1
; COMPUTE_PGM_RSRC2:TGID_Y_EN: 0
; COMPUTE_PGM_RSRC2:TGID_Z_EN: 0
; COMPUTE_PGM_RSRC2:TIDIG_COMP_CNT: 0
; COMPUTE_PGM_RSRC3_GFX90A:ACCUM_OFFSET: 14
; COMPUTE_PGM_RSRC3_GFX90A:TG_SPLIT: 0
	.text
	.p2alignl 6, 3212836864
	.fill 256, 4, 3212836864
	.type	__hip_cuid_4f86113ee1f8ff09,@object ; @__hip_cuid_4f86113ee1f8ff09
	.section	.bss,"aw",@nobits
	.globl	__hip_cuid_4f86113ee1f8ff09
__hip_cuid_4f86113ee1f8ff09:
	.byte	0                               ; 0x0
	.size	__hip_cuid_4f86113ee1f8ff09, 1

	.ident	"AMD clang version 19.0.0git (https://github.com/RadeonOpenCompute/llvm-project roc-6.4.0 25133 c7fe45cf4b819c5991fe208aaa96edf142730f1d)"
	.section	".note.GNU-stack","",@progbits
	.addrsig
	.addrsig_sym __hip_cuid_4f86113ee1f8ff09
	.amdgpu_metadata
---
amdhsa.kernels:
  - .agpr_count:     0
    .args:           []
    .group_segment_fixed_size: 0
    .kernarg_segment_align: 4
    .kernarg_segment_size: 0
    .language:       OpenCL C
    .language_version:
      - 2
      - 0
    .max_flat_workgroup_size: 1024
    .name:           _ZN7ck_tileL11flush_cacheEv
    .private_segment_fixed_size: 0
    .sgpr_count:     4
    .sgpr_spill_count: 0
    .symbol:         _ZN7ck_tileL11flush_cacheEv.kd
    .uniform_work_group_size: 1
    .uses_dynamic_stack: false
    .vgpr_count:     0
    .vgpr_spill_count: 0
    .wavefront_size: 64
  - .agpr_count:     0
    .args:
      - .address_space:  global
        .offset:         0
        .size:           8
        .value_kind:     global_buffer
      - .address_space:  global
        .offset:         8
        .size:           8
        .value_kind:     global_buffer
      - .address_space:  global
        .offset:         16
        .size:           8
        .value_kind:     global_buffer
      - .address_space:  global
        .offset:         24
        .size:           8
        .value_kind:     global_buffer
      - .address_space:  global
        .offset:         32
        .size:           8
        .value_kind:     global_buffer
      - .address_space:  global
        .offset:         40
        .size:           8
        .value_kind:     global_buffer
      - .offset:         48
        .size:           4
        .value_kind:     by_value
      - .address_space:  global
        .offset:         56
        .size:           8
        .value_kind:     global_buffer
      - .address_space:  global
        .offset:         64
        .size:           8
        .value_kind:     global_buffer
      - .offset:         72
        .size:           4
        .value_kind:     by_value
      - .offset:         76
        .size:           4
        .value_kind:     by_value
      - .offset:         80
        .size:           1
        .value_kind:     by_value
      - .offset:         88
        .size:           4
        .value_kind:     hidden_block_count_x
      - .offset:         92
        .size:           4
        .value_kind:     hidden_block_count_y
      - .offset:         96
        .size:           4
        .value_kind:     hidden_block_count_z
      - .offset:         100
        .size:           2
        .value_kind:     hidden_group_size_x
      - .offset:         102
        .size:           2
        .value_kind:     hidden_group_size_y
      - .offset:         104
        .size:           2
        .value_kind:     hidden_group_size_z
      - .offset:         106
        .size:           2
        .value_kind:     hidden_remainder_x
      - .offset:         108
        .size:           2
        .value_kind:     hidden_remainder_y
      - .offset:         110
        .size:           2
        .value_kind:     hidden_remainder_z
      - .offset:         128
        .size:           8
        .value_kind:     hidden_global_offset_x
      - .offset:         136
        .size:           8
        .value_kind:     hidden_global_offset_y
      - .offset:         144
        .size:           8
        .value_kind:     hidden_global_offset_z
      - .offset:         152
        .size:           2
        .value_kind:     hidden_grid_dims
    .group_segment_fixed_size: 16912
    .kernarg_segment_align: 8
    .kernarg_segment_size: 344
    .language:       OpenCL C
    .language_version:
      - 2
      - 0
    .max_flat_workgroup_size: 1024
    .name:           _ZN5aiter2mb23radix_kernel_persistentIfiLi11ELi1024ELb1ELb0ELNS0_5PhaseE0EEEvPKT_PKT0_PS3_PS6_PNS0_7CounterIS3_S6_EESA_S6_S8_S8_S6_S6_b
    .private_segment_fixed_size: 0
    .sgpr_count:     99
    .sgpr_spill_count: 0
    .symbol:         _ZN5aiter2mb23radix_kernel_persistentIfiLi11ELi1024ELb1ELb0ELNS0_5PhaseE0EEEvPKT_PKT0_PS3_PS6_PNS0_7CounterIS3_S6_EESA_S6_S8_S8_S6_S6_b.kd
    .uniform_work_group_size: 1
    .uses_dynamic_stack: false
    .vgpr_count:     66
    .vgpr_spill_count: 0
    .wavefront_size: 64
  - .agpr_count:     0
    .args:
      - .address_space:  global
        .offset:         0
        .size:           8
        .value_kind:     global_buffer
      - .address_space:  global
        .offset:         8
        .size:           8
        .value_kind:     global_buffer
      - .address_space:  global
        .offset:         16
        .size:           8
        .value_kind:     global_buffer
      - .address_space:  global
        .offset:         24
        .size:           8
        .value_kind:     global_buffer
      - .address_space:  global
        .offset:         32
        .size:           8
        .value_kind:     global_buffer
      - .address_space:  global
        .offset:         40
        .size:           8
        .value_kind:     global_buffer
      - .offset:         48
        .size:           4
        .value_kind:     by_value
      - .address_space:  global
        .offset:         56
        .size:           8
        .value_kind:     global_buffer
      - .address_space:  global
        .offset:         64
        .size:           8
        .value_kind:     global_buffer
      - .offset:         72
        .size:           4
        .value_kind:     by_value
      - .offset:         76
        .size:           4
        .value_kind:     by_value
      - .offset:         80
        .size:           1
        .value_kind:     by_value
      - .offset:         88
        .size:           4
        .value_kind:     hidden_block_count_x
      - .offset:         92
        .size:           4
        .value_kind:     hidden_block_count_y
      - .offset:         96
        .size:           4
        .value_kind:     hidden_block_count_z
      - .offset:         100
        .size:           2
        .value_kind:     hidden_group_size_x
      - .offset:         102
        .size:           2
        .value_kind:     hidden_group_size_y
      - .offset:         104
        .size:           2
        .value_kind:     hidden_group_size_z
      - .offset:         106
        .size:           2
        .value_kind:     hidden_remainder_x
      - .offset:         108
        .size:           2
        .value_kind:     hidden_remainder_y
      - .offset:         110
        .size:           2
        .value_kind:     hidden_remainder_z
      - .offset:         128
        .size:           8
        .value_kind:     hidden_global_offset_x
      - .offset:         136
        .size:           8
        .value_kind:     hidden_global_offset_y
      - .offset:         144
        .size:           8
        .value_kind:     hidden_global_offset_z
      - .offset:         152
        .size:           2
        .value_kind:     hidden_grid_dims
    .group_segment_fixed_size: 8592
    .kernarg_segment_align: 8
    .kernarg_segment_size: 344
    .language:       OpenCL C
    .language_version:
      - 2
      - 0
    .max_flat_workgroup_size: 1024
    .name:           _ZN5aiter2mb23radix_kernel_persistentIfiLi10ELi1024ELb1ELb0ELNS0_5PhaseE0EEEvPKT_PKT0_PS3_PS6_PNS0_7CounterIS3_S6_EESA_S6_S8_S8_S6_S6_b
    .private_segment_fixed_size: 0
    .sgpr_count:     96
    .sgpr_spill_count: 0
    .symbol:         _ZN5aiter2mb23radix_kernel_persistentIfiLi10ELi1024ELb1ELb0ELNS0_5PhaseE0EEEvPKT_PKT0_PS3_PS6_PNS0_7CounterIS3_S6_EESA_S6_S8_S8_S6_S6_b.kd
    .uniform_work_group_size: 1
    .uses_dynamic_stack: false
    .vgpr_count:     64
    .vgpr_spill_count: 0
    .wavefront_size: 64
  - .agpr_count:     0
    .args:
      - .address_space:  global
        .offset:         0
        .size:           8
        .value_kind:     global_buffer
      - .address_space:  global
        .offset:         8
        .size:           8
        .value_kind:     global_buffer
      - .address_space:  global
        .offset:         16
        .size:           8
        .value_kind:     global_buffer
      - .address_space:  global
        .offset:         24
        .size:           8
        .value_kind:     global_buffer
      - .address_space:  global
        .offset:         32
        .size:           8
        .value_kind:     global_buffer
      - .address_space:  global
        .offset:         40
        .size:           8
        .value_kind:     global_buffer
      - .offset:         48
        .size:           4
        .value_kind:     by_value
      - .address_space:  global
        .offset:         56
        .size:           8
        .value_kind:     global_buffer
      - .address_space:  global
        .offset:         64
        .size:           8
        .value_kind:     global_buffer
      - .offset:         72
        .size:           4
        .value_kind:     by_value
      - .offset:         76
        .size:           4
        .value_kind:     by_value
      - .offset:         80
        .size:           1
        .value_kind:     by_value
      - .offset:         88
        .size:           4
        .value_kind:     hidden_block_count_x
      - .offset:         92
        .size:           4
        .value_kind:     hidden_block_count_y
      - .offset:         96
        .size:           4
        .value_kind:     hidden_block_count_z
      - .offset:         100
        .size:           2
        .value_kind:     hidden_group_size_x
      - .offset:         102
        .size:           2
        .value_kind:     hidden_group_size_y
      - .offset:         104
        .size:           2
        .value_kind:     hidden_group_size_z
      - .offset:         106
        .size:           2
        .value_kind:     hidden_remainder_x
      - .offset:         108
        .size:           2
        .value_kind:     hidden_remainder_y
      - .offset:         110
        .size:           2
        .value_kind:     hidden_remainder_z
      - .offset:         128
        .size:           8
        .value_kind:     hidden_global_offset_x
      - .offset:         136
        .size:           8
        .value_kind:     hidden_global_offset_y
      - .offset:         144
        .size:           8
        .value_kind:     hidden_global_offset_z
      - .offset:         152
        .size:           2
        .value_kind:     hidden_grid_dims
    .group_segment_fixed_size: 16912
    .kernarg_segment_align: 8
    .kernarg_segment_size: 344
    .language:       OpenCL C
    .language_version:
      - 2
      - 0
    .max_flat_workgroup_size: 1024
    .name:           _ZN5aiter2mb23radix_kernel_persistentIfiLi11ELi1024ELb0ELb0ELNS0_5PhaseE0EEEvPKT_PKT0_PS3_PS6_PNS0_7CounterIS3_S6_EESA_S6_S8_S8_S6_S6_b
    .private_segment_fixed_size: 0
    .sgpr_count:     97
    .sgpr_spill_count: 0
    .symbol:         _ZN5aiter2mb23radix_kernel_persistentIfiLi11ELi1024ELb0ELb0ELNS0_5PhaseE0EEEvPKT_PKT0_PS3_PS6_PNS0_7CounterIS3_S6_EESA_S6_S8_S8_S6_S6_b.kd
    .uniform_work_group_size: 1
    .uses_dynamic_stack: false
    .vgpr_count:     66
    .vgpr_spill_count: 0
    .wavefront_size: 64
  - .agpr_count:     0
    .args:
      - .address_space:  global
        .offset:         0
        .size:           8
        .value_kind:     global_buffer
      - .address_space:  global
        .offset:         8
        .size:           8
        .value_kind:     global_buffer
      - .address_space:  global
        .offset:         16
        .size:           8
        .value_kind:     global_buffer
      - .address_space:  global
        .offset:         24
        .size:           8
        .value_kind:     global_buffer
      - .address_space:  global
        .offset:         32
        .size:           8
        .value_kind:     global_buffer
      - .address_space:  global
        .offset:         40
        .size:           8
        .value_kind:     global_buffer
      - .offset:         48
        .size:           4
        .value_kind:     by_value
      - .address_space:  global
        .offset:         56
        .size:           8
        .value_kind:     global_buffer
      - .address_space:  global
        .offset:         64
        .size:           8
        .value_kind:     global_buffer
      - .offset:         72
        .size:           4
        .value_kind:     by_value
      - .offset:         76
        .size:           4
        .value_kind:     by_value
      - .offset:         80
        .size:           1
        .value_kind:     by_value
      - .offset:         88
        .size:           4
        .value_kind:     hidden_block_count_x
      - .offset:         92
        .size:           4
        .value_kind:     hidden_block_count_y
      - .offset:         96
        .size:           4
        .value_kind:     hidden_block_count_z
      - .offset:         100
        .size:           2
        .value_kind:     hidden_group_size_x
      - .offset:         102
        .size:           2
        .value_kind:     hidden_group_size_y
      - .offset:         104
        .size:           2
        .value_kind:     hidden_group_size_z
      - .offset:         106
        .size:           2
        .value_kind:     hidden_remainder_x
      - .offset:         108
        .size:           2
        .value_kind:     hidden_remainder_y
      - .offset:         110
        .size:           2
        .value_kind:     hidden_remainder_z
      - .offset:         128
        .size:           8
        .value_kind:     hidden_global_offset_x
      - .offset:         136
        .size:           8
        .value_kind:     hidden_global_offset_y
      - .offset:         144
        .size:           8
        .value_kind:     hidden_global_offset_z
      - .offset:         152
        .size:           2
        .value_kind:     hidden_grid_dims
    .group_segment_fixed_size: 8592
    .kernarg_segment_align: 8
    .kernarg_segment_size: 344
    .language:       OpenCL C
    .language_version:
      - 2
      - 0
    .max_flat_workgroup_size: 1024
    .name:           _ZN5aiter2mb23radix_kernel_persistentIfiLi10ELi1024ELb0ELb0ELNS0_5PhaseE0EEEvPKT_PKT0_PS3_PS6_PNS0_7CounterIS3_S6_EESA_S6_S8_S8_S6_S6_b
    .private_segment_fixed_size: 0
    .sgpr_count:     94
    .sgpr_spill_count: 0
    .symbol:         _ZN5aiter2mb23radix_kernel_persistentIfiLi10ELi1024ELb0ELb0ELNS0_5PhaseE0EEEvPKT_PKT0_PS3_PS6_PNS0_7CounterIS3_S6_EESA_S6_S8_S8_S6_S6_b.kd
    .uniform_work_group_size: 1
    .uses_dynamic_stack: false
    .vgpr_count:     64
    .vgpr_spill_count: 0
    .wavefront_size: 64
  - .agpr_count:     8
    .args:
      - .address_space:  global
        .offset:         0
        .size:           8
        .value_kind:     global_buffer
      - .address_space:  global
        .offset:         8
        .size:           8
        .value_kind:     global_buffer
      - .offset:         16
        .size:           8
        .value_kind:     by_value
      - .address_space:  global
        .offset:         24
        .size:           8
        .value_kind:     global_buffer
      - .address_space:  global
        .offset:         32
        .size:           8
        .value_kind:     global_buffer
      - .offset:         40
        .size:           4
        .value_kind:     by_value
      - .address_space:  global
        .offset:         48
        .size:           8
        .value_kind:     global_buffer
      - .address_space:  global
        .offset:         56
        .size:           8
        .value_kind:     global_buffer
      - .offset:         64
        .size:           1
        .value_kind:     by_value
      - .address_space:  global
        .offset:         72
        .size:           8
        .value_kind:     global_buffer
      - .offset:         80
        .size:           4
        .value_kind:     by_value
      - .offset:         88
        .size:           4
        .value_kind:     hidden_block_count_x
      - .offset:         92
        .size:           4
        .value_kind:     hidden_block_count_y
      - .offset:         96
        .size:           4
        .value_kind:     hidden_block_count_z
      - .offset:         100
        .size:           2
        .value_kind:     hidden_group_size_x
      - .offset:         102
        .size:           2
        .value_kind:     hidden_group_size_y
      - .offset:         104
        .size:           2
        .value_kind:     hidden_group_size_z
      - .offset:         106
        .size:           2
        .value_kind:     hidden_remainder_x
      - .offset:         108
        .size:           2
        .value_kind:     hidden_remainder_y
      - .offset:         110
        .size:           2
        .value_kind:     hidden_remainder_z
      - .offset:         128
        .size:           8
        .value_kind:     hidden_global_offset_x
      - .offset:         136
        .size:           8
        .value_kind:     hidden_global_offset_y
      - .offset:         144
        .size:           8
        .value_kind:     hidden_global_offset_z
      - .offset:         152
        .size:           2
        .value_kind:     hidden_grid_dims
    .group_segment_fixed_size: 33920
    .kernarg_segment_align: 8
    .kernarg_segment_size: 344
    .language:       OpenCL C
    .language_version:
      - 2
      - 0
    .max_flat_workgroup_size: 1024
    .name:           _ZN5aiter2ob27radix_topk_one_block_kernelIfiLi12ELi1024ELb1ELb0ELNS0_5PhaseE0EEEvPKT_PKT0_lS8_S8_S6_PS3_PS6_bPci
    .private_segment_fixed_size: 0
    .sgpr_count:     62
    .sgpr_spill_count: 0
    .symbol:         _ZN5aiter2ob27radix_topk_one_block_kernelIfiLi12ELi1024ELb1ELb0ELNS0_5PhaseE0EEEvPKT_PKT0_lS8_S8_S6_PS3_PS6_bPci.kd
    .uniform_work_group_size: 1
    .uses_dynamic_stack: false
    .vgpr_count:     64
    .vgpr_spill_count: 0
    .wavefront_size: 64
  - .agpr_count:     8
    .args:
      - .address_space:  global
        .offset:         0
        .size:           8
        .value_kind:     global_buffer
      - .address_space:  global
        .offset:         8
        .size:           8
        .value_kind:     global_buffer
      - .offset:         16
        .size:           8
        .value_kind:     by_value
      - .address_space:  global
        .offset:         24
        .size:           8
        .value_kind:     global_buffer
      - .address_space:  global
        .offset:         32
        .size:           8
        .value_kind:     global_buffer
      - .offset:         40
        .size:           4
        .value_kind:     by_value
      - .address_space:  global
        .offset:         48
        .size:           8
        .value_kind:     global_buffer
      - .address_space:  global
        .offset:         56
        .size:           8
        .value_kind:     global_buffer
      - .offset:         64
        .size:           1
        .value_kind:     by_value
      - .address_space:  global
        .offset:         72
        .size:           8
        .value_kind:     global_buffer
      - .offset:         80
        .size:           4
        .value_kind:     by_value
      - .offset:         88
        .size:           4
        .value_kind:     hidden_block_count_x
      - .offset:         92
        .size:           4
        .value_kind:     hidden_block_count_y
      - .offset:         96
        .size:           4
        .value_kind:     hidden_block_count_z
      - .offset:         100
        .size:           2
        .value_kind:     hidden_group_size_x
      - .offset:         102
        .size:           2
        .value_kind:     hidden_group_size_y
      - .offset:         104
        .size:           2
        .value_kind:     hidden_group_size_z
      - .offset:         106
        .size:           2
        .value_kind:     hidden_remainder_x
      - .offset:         108
        .size:           2
        .value_kind:     hidden_remainder_y
      - .offset:         110
        .size:           2
        .value_kind:     hidden_remainder_z
      - .offset:         128
        .size:           8
        .value_kind:     hidden_global_offset_x
      - .offset:         136
        .size:           8
        .value_kind:     hidden_global_offset_y
      - .offset:         144
        .size:           8
        .value_kind:     hidden_global_offset_z
      - .offset:         152
        .size:           2
        .value_kind:     hidden_grid_dims
    .group_segment_fixed_size: 17280
    .kernarg_segment_align: 8
    .kernarg_segment_size: 344
    .language:       OpenCL C
    .language_version:
      - 2
      - 0
    .max_flat_workgroup_size: 1024
    .name:           _ZN5aiter2ob27radix_topk_one_block_kernelIfiLi11ELi1024ELb1ELb0ELNS0_5PhaseE0EEEvPKT_PKT0_lS8_S8_S6_PS3_PS6_bPci
    .private_segment_fixed_size: 0
    .sgpr_count:     62
    .sgpr_spill_count: 0
    .symbol:         _ZN5aiter2ob27radix_topk_one_block_kernelIfiLi11ELi1024ELb1ELb0ELNS0_5PhaseE0EEEvPKT_PKT0_lS8_S8_S6_PS3_PS6_bPci.kd
    .uniform_work_group_size: 1
    .uses_dynamic_stack: false
    .vgpr_count:     64
    .vgpr_spill_count: 0
    .wavefront_size: 64
  - .agpr_count:     11
    .args:
      - .address_space:  global
        .offset:         0
        .size:           8
        .value_kind:     global_buffer
      - .address_space:  global
        .offset:         8
        .size:           8
        .value_kind:     global_buffer
      - .offset:         16
        .size:           8
        .value_kind:     by_value
      - .address_space:  global
        .offset:         24
        .size:           8
        .value_kind:     global_buffer
      - .address_space:  global
        .offset:         32
        .size:           8
        .value_kind:     global_buffer
      - .offset:         40
        .size:           4
        .value_kind:     by_value
      - .address_space:  global
        .offset:         48
        .size:           8
        .value_kind:     global_buffer
      - .address_space:  global
        .offset:         56
        .size:           8
        .value_kind:     global_buffer
      - .offset:         64
        .size:           1
        .value_kind:     by_value
      - .address_space:  global
        .offset:         72
        .size:           8
        .value_kind:     global_buffer
      - .offset:         80
        .size:           4
        .value_kind:     by_value
      - .offset:         88
        .size:           4
        .value_kind:     hidden_block_count_x
      - .offset:         92
        .size:           4
        .value_kind:     hidden_block_count_y
      - .offset:         96
        .size:           4
        .value_kind:     hidden_block_count_z
      - .offset:         100
        .size:           2
        .value_kind:     hidden_group_size_x
      - .offset:         102
        .size:           2
        .value_kind:     hidden_group_size_y
      - .offset:         104
        .size:           2
        .value_kind:     hidden_group_size_z
      - .offset:         106
        .size:           2
        .value_kind:     hidden_remainder_x
      - .offset:         108
        .size:           2
        .value_kind:     hidden_remainder_y
      - .offset:         110
        .size:           2
        .value_kind:     hidden_remainder_z
      - .offset:         128
        .size:           8
        .value_kind:     hidden_global_offset_x
      - .offset:         136
        .size:           8
        .value_kind:     hidden_global_offset_y
      - .offset:         144
        .size:           8
        .value_kind:     hidden_global_offset_z
      - .offset:         152
        .size:           2
        .value_kind:     hidden_grid_dims
    .group_segment_fixed_size: 33920
    .kernarg_segment_align: 8
    .kernarg_segment_size: 344
    .language:       OpenCL C
    .language_version:
      - 2
      - 0
    .max_flat_workgroup_size: 1024
    .name:           _ZN5aiter2ob27radix_topk_one_block_kernelIfiLi12ELi1024ELb0ELb0ELNS0_5PhaseE0EEEvPKT_PKT0_lS8_S8_S6_PS3_PS6_bPci
    .private_segment_fixed_size: 0
    .sgpr_count:     62
    .sgpr_spill_count: 0
    .symbol:         _ZN5aiter2ob27radix_topk_one_block_kernelIfiLi12ELi1024ELb0ELb0ELNS0_5PhaseE0EEEvPKT_PKT0_lS8_S8_S6_PS3_PS6_bPci.kd
    .uniform_work_group_size: 1
    .uses_dynamic_stack: false
    .vgpr_count:     71
    .vgpr_spill_count: 0
    .wavefront_size: 64
  - .agpr_count:     11
    .args:
      - .address_space:  global
        .offset:         0
        .size:           8
        .value_kind:     global_buffer
      - .address_space:  global
        .offset:         8
        .size:           8
        .value_kind:     global_buffer
      - .offset:         16
        .size:           8
        .value_kind:     by_value
      - .address_space:  global
        .offset:         24
        .size:           8
        .value_kind:     global_buffer
      - .address_space:  global
        .offset:         32
        .size:           8
        .value_kind:     global_buffer
      - .offset:         40
        .size:           4
        .value_kind:     by_value
      - .address_space:  global
        .offset:         48
        .size:           8
        .value_kind:     global_buffer
      - .address_space:  global
        .offset:         56
        .size:           8
        .value_kind:     global_buffer
      - .offset:         64
        .size:           1
        .value_kind:     by_value
      - .address_space:  global
        .offset:         72
        .size:           8
        .value_kind:     global_buffer
      - .offset:         80
        .size:           4
        .value_kind:     by_value
      - .offset:         88
        .size:           4
        .value_kind:     hidden_block_count_x
      - .offset:         92
        .size:           4
        .value_kind:     hidden_block_count_y
      - .offset:         96
        .size:           4
        .value_kind:     hidden_block_count_z
      - .offset:         100
        .size:           2
        .value_kind:     hidden_group_size_x
      - .offset:         102
        .size:           2
        .value_kind:     hidden_group_size_y
      - .offset:         104
        .size:           2
        .value_kind:     hidden_group_size_z
      - .offset:         106
        .size:           2
        .value_kind:     hidden_remainder_x
      - .offset:         108
        .size:           2
        .value_kind:     hidden_remainder_y
      - .offset:         110
        .size:           2
        .value_kind:     hidden_remainder_z
      - .offset:         128
        .size:           8
        .value_kind:     hidden_global_offset_x
      - .offset:         136
        .size:           8
        .value_kind:     hidden_global_offset_y
      - .offset:         144
        .size:           8
        .value_kind:     hidden_global_offset_z
      - .offset:         152
        .size:           2
        .value_kind:     hidden_grid_dims
    .group_segment_fixed_size: 17280
    .kernarg_segment_align: 8
    .kernarg_segment_size: 344
    .language:       OpenCL C
    .language_version:
      - 2
      - 0
    .max_flat_workgroup_size: 1024
    .name:           _ZN5aiter2ob27radix_topk_one_block_kernelIfiLi11ELi1024ELb0ELb0ELNS0_5PhaseE0EEEvPKT_PKT0_lS8_S8_S6_PS3_PS6_bPci
    .private_segment_fixed_size: 0
    .sgpr_count:     62
    .sgpr_spill_count: 0
    .symbol:         _ZN5aiter2ob27radix_topk_one_block_kernelIfiLi11ELi1024ELb0ELb0ELNS0_5PhaseE0EEEvPKT_PKT0_lS8_S8_S6_PS3_PS6_bPci.kd
    .uniform_work_group_size: 1
    .uses_dynamic_stack: false
    .vgpr_count:     71
    .vgpr_spill_count: 0
    .wavefront_size: 64
  - .agpr_count:     0
    .args:
      - .address_space:  global
        .offset:         0
        .size:           8
        .value_kind:     global_buffer
      - .address_space:  global
        .offset:         8
        .size:           8
        .value_kind:     global_buffer
      - .address_space:  global
        .offset:         16
        .size:           8
        .value_kind:     global_buffer
      - .address_space:  global
        .offset:         24
        .size:           8
        .value_kind:     global_buffer
      - .address_space:  global
        .offset:         32
        .size:           8
        .value_kind:     global_buffer
      - .address_space:  global
        .offset:         40
        .size:           8
        .value_kind:     global_buffer
      - .offset:         48
        .size:           4
        .value_kind:     by_value
      - .address_space:  global
        .offset:         56
        .size:           8
        .value_kind:     global_buffer
      - .address_space:  global
        .offset:         64
        .size:           8
        .value_kind:     global_buffer
      - .offset:         72
        .size:           4
        .value_kind:     by_value
      - .offset:         76
        .size:           4
        .value_kind:     by_value
      - .offset:         80
        .size:           1
        .value_kind:     by_value
      - .offset:         88
        .size:           4
        .value_kind:     hidden_block_count_x
      - .offset:         92
        .size:           4
        .value_kind:     hidden_block_count_y
      - .offset:         96
        .size:           4
        .value_kind:     hidden_block_count_z
      - .offset:         100
        .size:           2
        .value_kind:     hidden_group_size_x
      - .offset:         102
        .size:           2
        .value_kind:     hidden_group_size_y
      - .offset:         104
        .size:           2
        .value_kind:     hidden_group_size_z
      - .offset:         106
        .size:           2
        .value_kind:     hidden_remainder_x
      - .offset:         108
        .size:           2
        .value_kind:     hidden_remainder_y
      - .offset:         110
        .size:           2
        .value_kind:     hidden_remainder_z
      - .offset:         128
        .size:           8
        .value_kind:     hidden_global_offset_x
      - .offset:         136
        .size:           8
        .value_kind:     hidden_global_offset_y
      - .offset:         144
        .size:           8
        .value_kind:     hidden_global_offset_z
      - .offset:         152
        .size:           2
        .value_kind:     hidden_grid_dims
    .group_segment_fixed_size: 16912
    .kernarg_segment_align: 8
    .kernarg_segment_size: 344
    .language:       OpenCL C
    .language_version:
      - 2
      - 0
    .max_flat_workgroup_size: 1024
    .name:           _ZN5aiter2mb23radix_kernel_persistentIfiLi11ELi1024ELb0ELb0ELNS0_5PhaseE1EEEvPKT_PKT0_PS3_PS6_PNS0_7CounterIS3_S6_EESA_S6_S8_S8_S6_S6_b
    .private_segment_fixed_size: 0
    .sgpr_count:     98
    .sgpr_spill_count: 0
    .symbol:         _ZN5aiter2mb23radix_kernel_persistentIfiLi11ELi1024ELb0ELb0ELNS0_5PhaseE1EEEvPKT_PKT0_PS3_PS6_PNS0_7CounterIS3_S6_EESA_S6_S8_S8_S6_S6_b.kd
    .uniform_work_group_size: 1
    .uses_dynamic_stack: false
    .vgpr_count:     70
    .vgpr_spill_count: 0
    .wavefront_size: 64
  - .agpr_count:     0
    .args:
      - .address_space:  global
        .offset:         0
        .size:           8
        .value_kind:     global_buffer
      - .address_space:  global
        .offset:         8
        .size:           8
        .value_kind:     global_buffer
      - .address_space:  global
        .offset:         16
        .size:           8
        .value_kind:     global_buffer
      - .address_space:  global
        .offset:         24
        .size:           8
        .value_kind:     global_buffer
      - .address_space:  global
        .offset:         32
        .size:           8
        .value_kind:     global_buffer
      - .address_space:  global
        .offset:         40
        .size:           8
        .value_kind:     global_buffer
      - .offset:         48
        .size:           4
        .value_kind:     by_value
      - .address_space:  global
        .offset:         56
        .size:           8
        .value_kind:     global_buffer
      - .address_space:  global
        .offset:         64
        .size:           8
        .value_kind:     global_buffer
      - .offset:         72
        .size:           4
        .value_kind:     by_value
      - .offset:         76
        .size:           4
        .value_kind:     by_value
      - .offset:         80
        .size:           1
        .value_kind:     by_value
      - .offset:         88
        .size:           4
        .value_kind:     hidden_block_count_x
      - .offset:         92
        .size:           4
        .value_kind:     hidden_block_count_y
      - .offset:         96
        .size:           4
        .value_kind:     hidden_block_count_z
      - .offset:         100
        .size:           2
        .value_kind:     hidden_group_size_x
      - .offset:         102
        .size:           2
        .value_kind:     hidden_group_size_y
      - .offset:         104
        .size:           2
        .value_kind:     hidden_group_size_z
      - .offset:         106
        .size:           2
        .value_kind:     hidden_remainder_x
      - .offset:         108
        .size:           2
        .value_kind:     hidden_remainder_y
      - .offset:         110
        .size:           2
        .value_kind:     hidden_remainder_z
      - .offset:         128
        .size:           8
        .value_kind:     hidden_global_offset_x
      - .offset:         136
        .size:           8
        .value_kind:     hidden_global_offset_y
      - .offset:         144
        .size:           8
        .value_kind:     hidden_global_offset_z
      - .offset:         152
        .size:           2
        .value_kind:     hidden_grid_dims
    .group_segment_fixed_size: 8592
    .kernarg_segment_align: 8
    .kernarg_segment_size: 344
    .language:       OpenCL C
    .language_version:
      - 2
      - 0
    .max_flat_workgroup_size: 1024
    .name:           _ZN5aiter2mb23radix_kernel_persistentIfiLi10ELi1024ELb0ELb0ELNS0_5PhaseE1EEEvPKT_PKT0_PS3_PS6_PNS0_7CounterIS3_S6_EESA_S6_S8_S8_S6_S6_b
    .private_segment_fixed_size: 0
    .sgpr_count:     95
    .sgpr_spill_count: 0
    .symbol:         _ZN5aiter2mb23radix_kernel_persistentIfiLi10ELi1024ELb0ELb0ELNS0_5PhaseE1EEEvPKT_PKT0_PS3_PS6_PNS0_7CounterIS3_S6_EESA_S6_S8_S8_S6_S6_b.kd
    .uniform_work_group_size: 1
    .uses_dynamic_stack: false
    .vgpr_count:     63
    .vgpr_spill_count: 0
    .wavefront_size: 64
  - .agpr_count:     11
    .args:
      - .address_space:  global
        .offset:         0
        .size:           8
        .value_kind:     global_buffer
      - .address_space:  global
        .offset:         8
        .size:           8
        .value_kind:     global_buffer
      - .offset:         16
        .size:           8
        .value_kind:     by_value
      - .address_space:  global
        .offset:         24
        .size:           8
        .value_kind:     global_buffer
      - .address_space:  global
        .offset:         32
        .size:           8
        .value_kind:     global_buffer
      - .offset:         40
        .size:           4
        .value_kind:     by_value
      - .address_space:  global
        .offset:         48
        .size:           8
        .value_kind:     global_buffer
      - .address_space:  global
        .offset:         56
        .size:           8
        .value_kind:     global_buffer
      - .offset:         64
        .size:           1
        .value_kind:     by_value
      - .address_space:  global
        .offset:         72
        .size:           8
        .value_kind:     global_buffer
      - .offset:         80
        .size:           4
        .value_kind:     by_value
      - .offset:         88
        .size:           4
        .value_kind:     hidden_block_count_x
      - .offset:         92
        .size:           4
        .value_kind:     hidden_block_count_y
      - .offset:         96
        .size:           4
        .value_kind:     hidden_block_count_z
      - .offset:         100
        .size:           2
        .value_kind:     hidden_group_size_x
      - .offset:         102
        .size:           2
        .value_kind:     hidden_group_size_y
      - .offset:         104
        .size:           2
        .value_kind:     hidden_group_size_z
      - .offset:         106
        .size:           2
        .value_kind:     hidden_remainder_x
      - .offset:         108
        .size:           2
        .value_kind:     hidden_remainder_y
      - .offset:         110
        .size:           2
        .value_kind:     hidden_remainder_z
      - .offset:         128
        .size:           8
        .value_kind:     hidden_global_offset_x
      - .offset:         136
        .size:           8
        .value_kind:     hidden_global_offset_y
      - .offset:         144
        .size:           8
        .value_kind:     hidden_global_offset_z
      - .offset:         152
        .size:           2
        .value_kind:     hidden_grid_dims
    .group_segment_fixed_size: 33920
    .kernarg_segment_align: 8
    .kernarg_segment_size: 344
    .language:       OpenCL C
    .language_version:
      - 2
      - 0
    .max_flat_workgroup_size: 1024
    .name:           _ZN5aiter2ob27radix_topk_one_block_kernelIfiLi12ELi1024ELb0ELb0ELNS0_5PhaseE1EEEvPKT_PKT0_lS8_S8_S6_PS3_PS6_bPci
    .private_segment_fixed_size: 0
    .sgpr_count:     58
    .sgpr_spill_count: 0
    .symbol:         _ZN5aiter2ob27radix_topk_one_block_kernelIfiLi12ELi1024ELb0ELb0ELNS0_5PhaseE1EEEvPKT_PKT0_lS8_S8_S6_PS3_PS6_bPci.kd
    .uniform_work_group_size: 1
    .uses_dynamic_stack: false
    .vgpr_count:     71
    .vgpr_spill_count: 0
    .wavefront_size: 64
  - .agpr_count:     11
    .args:
      - .address_space:  global
        .offset:         0
        .size:           8
        .value_kind:     global_buffer
      - .address_space:  global
        .offset:         8
        .size:           8
        .value_kind:     global_buffer
      - .offset:         16
        .size:           8
        .value_kind:     by_value
      - .address_space:  global
        .offset:         24
        .size:           8
        .value_kind:     global_buffer
      - .address_space:  global
        .offset:         32
        .size:           8
        .value_kind:     global_buffer
      - .offset:         40
        .size:           4
        .value_kind:     by_value
      - .address_space:  global
        .offset:         48
        .size:           8
        .value_kind:     global_buffer
      - .address_space:  global
        .offset:         56
        .size:           8
        .value_kind:     global_buffer
      - .offset:         64
        .size:           1
        .value_kind:     by_value
      - .address_space:  global
        .offset:         72
        .size:           8
        .value_kind:     global_buffer
      - .offset:         80
        .size:           4
        .value_kind:     by_value
      - .offset:         88
        .size:           4
        .value_kind:     hidden_block_count_x
      - .offset:         92
        .size:           4
        .value_kind:     hidden_block_count_y
      - .offset:         96
        .size:           4
        .value_kind:     hidden_block_count_z
      - .offset:         100
        .size:           2
        .value_kind:     hidden_group_size_x
      - .offset:         102
        .size:           2
        .value_kind:     hidden_group_size_y
      - .offset:         104
        .size:           2
        .value_kind:     hidden_group_size_z
      - .offset:         106
        .size:           2
        .value_kind:     hidden_remainder_x
      - .offset:         108
        .size:           2
        .value_kind:     hidden_remainder_y
      - .offset:         110
        .size:           2
        .value_kind:     hidden_remainder_z
      - .offset:         128
        .size:           8
        .value_kind:     hidden_global_offset_x
      - .offset:         136
        .size:           8
        .value_kind:     hidden_global_offset_y
      - .offset:         144
        .size:           8
        .value_kind:     hidden_global_offset_z
      - .offset:         152
        .size:           2
        .value_kind:     hidden_grid_dims
    .group_segment_fixed_size: 17280
    .kernarg_segment_align: 8
    .kernarg_segment_size: 344
    .language:       OpenCL C
    .language_version:
      - 2
      - 0
    .max_flat_workgroup_size: 1024
    .name:           _ZN5aiter2ob27radix_topk_one_block_kernelIfiLi11ELi1024ELb0ELb0ELNS0_5PhaseE1EEEvPKT_PKT0_lS8_S8_S6_PS3_PS6_bPci
    .private_segment_fixed_size: 0
    .sgpr_count:     58
    .sgpr_spill_count: 0
    .symbol:         _ZN5aiter2ob27radix_topk_one_block_kernelIfiLi11ELi1024ELb0ELb0ELNS0_5PhaseE1EEEvPKT_PKT0_lS8_S8_S6_PS3_PS6_bPci.kd
    .uniform_work_group_size: 1
    .uses_dynamic_stack: false
    .vgpr_count:     71
    .vgpr_spill_count: 0
    .wavefront_size: 64
amdhsa.target:   amdgcn-amd-amdhsa--gfx90a
amdhsa.version:
  - 1
  - 2
...

	.end_amdgpu_metadata
